;; amdgpu-corpus repo=ROCm/rocFFT kind=compiled arch=gfx1201 opt=O3
	.text
	.amdgcn_target "amdgcn-amd-amdhsa--gfx1201"
	.amdhsa_code_object_version 6
	.protected	bluestein_single_back_len1320_dim1_half_op_CI_CI ; -- Begin function bluestein_single_back_len1320_dim1_half_op_CI_CI
	.globl	bluestein_single_back_len1320_dim1_half_op_CI_CI
	.p2align	8
	.type	bluestein_single_back_len1320_dim1_half_op_CI_CI,@function
bluestein_single_back_len1320_dim1_half_op_CI_CI: ; @bluestein_single_back_len1320_dim1_half_op_CI_CI
; %bb.0:
	s_load_b128 s[4:7], s[0:1], 0x28
	v_mul_u32_u24_e32 v1, 0x18e, v0
	s_mov_b32 s2, exec_lo
	v_mov_b32_e32 v15, 0
	s_delay_alu instid0(VALU_DEP_2) | instskip(NEXT) | instid1(VALU_DEP_1)
	v_lshrrev_b32_e32 v1, 16, v1
	v_add_nc_u32_e32 v14, ttmp9, v1
	s_wait_kmcnt 0x0
	s_delay_alu instid0(VALU_DEP_1)
	v_cmpx_gt_u64_e64 s[4:5], v[14:15]
	s_cbranch_execz .LBB0_31
; %bb.1:
	s_clause 0x1
	s_load_b64 s[14:15], s[0:1], 0x0
	s_load_b64 s[12:13], s[0:1], 0x38
	v_mul_lo_u16 v1, 0xa5, v1
	s_delay_alu instid0(VALU_DEP_1) | instskip(NEXT) | instid1(VALU_DEP_1)
	v_sub_nc_u16 v0, v0, v1
	v_and_b32_e32 v32, 0xffff, v0
	v_cmp_gt_u16_e32 vcc_lo, 0x78, v0
	s_delay_alu instid0(VALU_DEP_2)
	v_lshlrev_b32_e32 v31, 2, v32
	s_and_saveexec_b32 s3, vcc_lo
	s_cbranch_execz .LBB0_3
; %bb.2:
	s_load_b64 s[4:5], s[0:1], 0x18
	s_wait_kmcnt 0x0
	s_load_b128 s[8:11], s[4:5], 0x0
	s_wait_kmcnt 0x0
	v_mad_co_u64_u32 v[0:1], null, s10, v14, 0
	v_mad_co_u64_u32 v[2:3], null, s8, v32, 0
	s_mul_u64 s[4:5], s[8:9], 0x1e0
	s_delay_alu instid0(VALU_DEP_1) | instskip(NEXT) | instid1(VALU_DEP_1)
	v_mad_co_u64_u32 v[4:5], null, s11, v14, v[1:2]
	v_mad_co_u64_u32 v[5:6], null, s9, v32, v[3:4]
	v_mov_b32_e32 v1, v4
	s_delay_alu instid0(VALU_DEP_1) | instskip(NEXT) | instid1(VALU_DEP_3)
	v_lshlrev_b64_e32 v[0:1], 2, v[0:1]
	v_mov_b32_e32 v3, v5
	s_clause 0x9
	global_load_b32 v4, v31, s[14:15]
	global_load_b32 v5, v31, s[14:15] offset:480
	global_load_b32 v6, v31, s[14:15] offset:960
	;; [unrolled: 1-line block ×9, first 2 shown]
	v_lshlrev_b64_e32 v[2:3], 2, v[2:3]
	v_add_co_u32 v0, s2, s6, v0
	s_delay_alu instid0(VALU_DEP_1) | instskip(NEXT) | instid1(VALU_DEP_2)
	v_add_co_ci_u32_e64 v1, s2, s7, v1, s2
	v_add_co_u32 v0, s2, v0, v2
	s_wait_alu 0xf1ff
	s_delay_alu instid0(VALU_DEP_2) | instskip(SKIP_1) | instid1(VALU_DEP_2)
	v_add_co_ci_u32_e64 v1, s2, v1, v3, s2
	s_wait_alu 0xfffe
	v_add_co_u32 v2, s2, v0, s4
	s_wait_alu 0xf1ff
	s_delay_alu instid0(VALU_DEP_2)
	v_add_co_ci_u32_e64 v3, s2, s5, v1, s2
	global_load_b32 v15, v[0:1], off
	v_add_co_u32 v0, s2, v2, s4
	s_wait_alu 0xf1ff
	v_add_co_ci_u32_e64 v1, s2, s5, v3, s2
	global_load_b32 v16, v[2:3], off
	global_load_b32 v17, v31, s[14:15] offset:4800
	global_load_b32 v18, v[0:1], off
	v_add_co_u32 v0, s2, v0, s4
	s_wait_alu 0xf1ff
	v_add_co_ci_u32_e64 v1, s2, s5, v1, s2
	s_delay_alu instid0(VALU_DEP_2) | instskip(SKIP_1) | instid1(VALU_DEP_2)
	v_add_co_u32 v2, s2, v0, s4
	s_wait_alu 0xf1ff
	v_add_co_ci_u32_e64 v3, s2, s5, v1, s2
	global_load_b32 v19, v[0:1], off
	v_add_co_u32 v0, s2, v2, s4
	s_wait_alu 0xf1ff
	v_add_co_ci_u32_e64 v1, s2, s5, v3, s2
	global_load_b32 v20, v[2:3], off
	global_load_b32 v21, v[0:1], off
	v_add_co_u32 v0, s2, v0, s4
	s_wait_alu 0xf1ff
	v_add_co_ci_u32_e64 v1, s2, s5, v1, s2
	s_delay_alu instid0(VALU_DEP_2) | instskip(SKIP_1) | instid1(VALU_DEP_2)
	v_add_co_u32 v2, s2, v0, s4
	s_wait_alu 0xf1ff
	v_add_co_ci_u32_e64 v3, s2, s5, v1, s2
	global_load_b32 v22, v[0:1], off
	v_add_co_u32 v0, s2, v2, s4
	s_wait_alu 0xf1ff
	v_add_co_ci_u32_e64 v1, s2, s5, v3, s2
	global_load_b32 v23, v[2:3], off
	;; [unrolled: 4-line block ×4, first 2 shown]
	global_load_b32 v0, v[0:1], off
	v_add_nc_u32_e32 v1, 0x200, v31
	v_add_nc_u32_e32 v3, 0x600, v31
	s_wait_loadcnt 0x15
	v_lshrrev_b32_e32 v25, 16, v4
	s_wait_loadcnt 0x14
	v_lshrrev_b32_e32 v26, 16, v5
	;; [unrolled: 2-line block ×11, first 2 shown]
	v_mul_f16_e32 v38, v25, v15
	s_wait_loadcnt 0xa
	v_lshrrev_b32_e32 v39, 16, v16
	s_delay_alu instid0(VALU_DEP_3)
	v_mul_f16_e32 v25, v25, v34
	v_mul_f16_e32 v41, v26, v16
	v_fma_f16 v34, v4, v34, -v38
	s_wait_loadcnt 0x8
	v_mul_f16_e32 v38, v27, v18
	v_lshrrev_b32_e32 v40, 16, v17
	v_fmac_f16_e32 v25, v4, v15
	v_mul_f16_e32 v4, v26, v39
	v_lshrrev_b32_e32 v15, 16, v18
	v_fma_f16 v26, v5, v39, -v41
	s_delay_alu instid0(VALU_DEP_4) | instskip(NEXT) | instid1(VALU_DEP_4)
	v_pack_b32_f16 v25, v25, v34
	v_fmac_f16_e32 v4, v5, v16
	s_delay_alu instid0(VALU_DEP_4)
	v_mul_f16_e32 v5, v27, v15
	s_wait_loadcnt 0x7
	v_lshrrev_b32_e32 v16, 16, v19
	v_mul_f16_e32 v27, v28, v19
	v_fma_f16 v15, v6, v15, -v38
	v_pack_b32_f16 v4, v4, v26
	v_fmac_f16_e32 v5, v6, v18
	v_mul_f16_e32 v6, v28, v16
	s_wait_loadcnt 0x6
	v_lshrrev_b32_e32 v18, 16, v20
	v_fma_f16 v16, v7, v16, -v27
	v_mul_f16_e32 v26, v29, v20
	ds_store_2addr_b32 v31, v25, v4 offset1:120
	v_pack_b32_f16 v4, v5, v15
	v_fmac_f16_e32 v6, v7, v19
	v_mul_f16_e32 v5, v29, v18
	s_wait_loadcnt 0x5
	v_lshrrev_b32_e32 v7, 16, v21
	v_fma_f16 v15, v8, v18, -v26
	v_mul_f16_e32 v18, v30, v21
	v_pack_b32_f16 v6, v6, v16
	v_fmac_f16_e32 v5, v8, v20
	v_mul_f16_e32 v8, v30, v7
	s_wait_loadcnt 0x4
	v_lshrrev_b32_e32 v16, 16, v22
	v_fma_f16 v7, v9, v7, -v18
	v_mul_f16_e32 v18, v33, v22
	;; [unrolled: 7-line block ×4, first 2 shown]
	v_pack_b32_f16 v9, v9, v16
	v_fmac_f16_e32 v8, v11, v23
	s_wait_loadcnt 0x1
	v_lshrrev_b32_e32 v16, 16, v2
	s_wait_loadcnt 0x0
	v_lshrrev_b32_e32 v19, 16, v0
	v_mul_f16_e32 v11, v36, v10
	v_fma_f16 v10, v12, v10, -v18
	v_mul_f16_e32 v18, v37, v2
	v_pack_b32_f16 v8, v8, v15
	v_mul_f16_e32 v15, v37, v16
	v_mul_f16_e32 v20, v40, v19
	;; [unrolled: 1-line block ×3, first 2 shown]
	v_fmac_f16_e32 v11, v12, v24
	v_fma_f16 v12, v13, v16, -v18
	v_fmac_f16_e32 v15, v13, v2
	v_fmac_f16_e32 v20, v17, v0
	v_fma_f16 v0, v17, v19, -v21
	v_add_nc_u32_e32 v2, 0xa00, v31
	v_pack_b32_f16 v10, v11, v10
	v_pack_b32_f16 v11, v15, v12
	v_add_nc_u32_e32 v12, 0xe00, v31
	v_pack_b32_f16 v0, v20, v0
	ds_store_2addr_b32 v1, v4, v6 offset0:112 offset1:232
	ds_store_2addr_b32 v3, v5, v7 offset0:96 offset1:216
	;; [unrolled: 1-line block ×4, first 2 shown]
	ds_store_b32 v31, v0 offset:4800
.LBB0_3:
	s_or_b32 exec_lo, exec_lo, s3
	s_clause 0x1
	s_load_b64 s[4:5], s[0:1], 0x20
	s_load_b64 s[2:3], s[0:1], 0x8
	v_mov_b32_e32 v0, 0
                                        ; kill: def $vgpr1 killed $sgpr0 killed $exec
	global_wb scope:SCOPE_SE
	s_wait_dscnt 0x0
	s_wait_kmcnt 0x0
	s_barrier_signal -1
	s_barrier_wait -1
	global_inv scope:SCOPE_SE
                                        ; implicit-def: $vgpr16
                                        ; implicit-def: $vgpr3
                                        ; implicit-def: $vgpr5
                                        ; implicit-def: $vgpr7
                                        ; implicit-def: $vgpr9
	s_and_saveexec_b32 s0, vcc_lo
	s_cbranch_execz .LBB0_5
; %bb.4:
	v_add_nc_u32_e32 v2, 0x200, v31
	v_add_nc_u32_e32 v3, 0x600, v31
	;; [unrolled: 1-line block ×4, first 2 shown]
	ds_load_2addr_b32 v[0:1], v31 offset1:120
	ds_load_2addr_b32 v[8:9], v2 offset0:112 offset1:232
	ds_load_2addr_b32 v[6:7], v3 offset0:96 offset1:216
	;; [unrolled: 1-line block ×4, first 2 shown]
	ds_load_b32 v16, v31 offset:4800
.LBB0_5:
	s_wait_alu 0xfffe
	s_or_b32 exec_lo, exec_lo, s0
	s_wait_dscnt 0x0
	v_pk_add_f16 v18, v1, v16 neg_lo:[0,1] neg_hi:[0,1]
	v_pk_add_f16 v17, v16, v1
	v_pk_add_f16 v20, v8, v3 neg_lo:[0,1] neg_hi:[0,1]
	v_lshrrev_b32_e32 v15, 16, v0
	v_pk_add_f16 v19, v3, v8
	v_lshrrev_b32_e32 v10, 16, v18
	v_lshrrev_b32_e32 v50, 16, v17
	v_mul_f16_e32 v39, 0xbb47, v18
	v_mul_f16_e32 v45, 0xbbeb, v18
	v_pk_mul_f16 v11, 0x3abb36a6, v17
	v_mul_f16_e32 v43, 0xbbeb, v10
	v_lshrrev_b32_e32 v12, 16, v20
	v_mul_f16_e32 v30, 0xb853, v10
	v_fma_f16 v13, v50, 0x36a6, -v39
	v_fma_f16 v21, v50, 0xb08e, -v45
	v_fmamk_f16 v22, v17, 0xb08e, v43
	v_pk_fma_f16 v27, 0xbb47b853, v18, v11 op_sel:[0,0,1] op_sel_hi:[1,1,0] neg_lo:[0,1,0] neg_hi:[0,1,0]
	v_mul_f16_e32 v29, 0xbb47, v12
	v_fmamk_f16 v10, v17, 0x3abb, v30
	v_pk_fma_f16 v28, 0xbb47b853, v18, v11 op_sel:[0,0,1] op_sel_hi:[1,1,0]
	v_add_f16_e32 v11, v13, v15
	v_add_f16_e32 v13, v21, v15
	v_add_f16_e32 v21, v22, v0
	v_pk_add_f16 v22, v9, v2 neg_lo:[0,1] neg_hi:[0,1]
	v_fmamk_f16 v23, v19, 0x36a6, v29
	v_add_f16_e32 v10, v10, v0
	v_pk_mul_f16 v24, 0x36a6b93d, v19
	v_lshrrev_b32_e32 v55, 16, v19
	v_mul_f16_e32 v44, 0xba0c, v20
	v_mul_f16_e32 v48, 0x3482, v12
	v_lshrrev_b32_e32 v12, 16, v22
	v_add_f16_e32 v10, v23, v10
	v_mul_f16_e32 v52, 0x3482, v20
	v_pk_fma_f16 v33, 0xba0cbb47, v20, v24 op_sel:[0,0,1] op_sel_hi:[1,1,0] neg_lo:[0,1,0] neg_hi:[0,1,0]
	v_fma_f16 v25, v55, 0xb93d, -v44
	v_fmamk_f16 v26, v19, 0xbbad, v48
	v_pk_add_f16 v23, v2, v9
	v_mul_f16_e32 v38, 0xbbeb, v12
	v_pk_fma_f16 v37, 0xba0cbb47, v20, v24 op_sel:[0,0,1] op_sel_hi:[1,1,0]
	v_pk_add_f16 v24, v6, v5 neg_lo:[0,1] neg_hi:[0,1]
	v_fma_f16 v34, v55, 0xbbad, -v52
	v_add_f16_e32 v11, v25, v11
	v_add_f16_e32 v25, v26, v21
	v_fmamk_f16 v21, v23, 0xb08e, v38
	v_lshrrev_b32_e32 v60, 16, v23
	v_mul_f16_e32 v51, 0x3482, v22
	v_mul_f16_e32 v54, 0x3b47, v12
	v_lshrrev_b32_e32 v12, 16, v24
	v_add_f16_e32 v13, v34, v13
	v_pk_mul_f16 v26, 0xb08ebbad, v23
	v_add_f16_e32 v10, v21, v10
	v_fma_f16 v34, v60, 0xbbad, -v51
	v_mul_f16_e32 v59, 0x3b47, v22
	v_fmamk_f16 v35, v23, 0x36a6, v54
	v_pk_add_f16 v21, v5, v6
	v_mul_f16_e32 v42, 0xba0c, v12
	v_pk_fma_f16 v40, 0x3482bbeb, v22, v26 op_sel:[0,0,1] op_sel_hi:[1,1,0] neg_lo:[0,1,0] neg_hi:[0,1,0]
	v_pk_fma_f16 v41, 0x3482bbeb, v22, v26 op_sel:[0,0,1] op_sel_hi:[1,1,0]
	v_add_f16_e32 v11, v34, v11
	v_add_f16_e32 v26, v35, v25
	v_fma_f16 v25, v60, 0x36a6, -v59
	v_fmamk_f16 v34, v21, 0xb93d, v42
	v_lshrrev_b32_e32 v64, 16, v21
	v_mul_f16_e32 v49, 0x3beb, v24
	v_mul_f16_e32 v58, 0xb853, v12
	v_pk_mul_f16 v35, 0xb93db08e, v21
	v_add_f16_e32 v12, v25, v13
	v_add_f16_e32 v10, v34, v10
	v_fma_f16 v13, v64, 0xb08e, -v49
	v_fmamk_f16 v34, v21, 0x3abb, v58
	v_pk_add_f16 v25, v7, v4 neg_lo:[0,1] neg_hi:[0,1]
	v_pk_fma_f16 v46, 0x3bebba0c, v24, v35 op_sel:[0,0,1] op_sel_hi:[1,1,0] neg_lo:[0,1,0] neg_hi:[0,1,0]
	v_pk_fma_f16 v47, 0x3bebba0c, v24, v35 op_sel:[0,0,1] op_sel_hi:[1,1,0]
	v_add_f16_e32 v11, v13, v11
	v_mul_f16_e32 v62, 0xb853, v24
	v_add_f16_e32 v13, v34, v26
	v_lshrrev_b32_e32 v34, 16, v25
	v_add_f16_e32 v35, v27, v15
	v_lshrrev_b32_e32 v36, 16, v28
	v_fma_f16 v56, v64, 0x3abb, -v62
	v_pk_add_f16 v26, v4, v7
	v_mul_f16_e32 v53, 0xb482, v34
	v_add_f16_e32 v35, v33, v35
	v_add_f16_e32 v36, v36, v0
	v_lshrrev_b32_e32 v57, 16, v37
	v_add_f16_e32 v67, v56, v12
	v_fmamk_f16 v12, v26, 0xbbad, v53
	v_pk_mul_f16 v61, 0xbbad3abb, v26
	v_add_f16_e32 v63, v40, v35
	v_add_f16_e32 v36, v57, v36
	v_lshrrev_b32_e32 v57, 16, v41
	v_add_f16_e32 v35, v12, v10
	v_pk_fma_f16 v56, 0x3853b482, v25, v61 op_sel:[0,0,1] op_sel_hi:[1,1,0] neg_lo:[0,1,0] neg_hi:[0,1,0]
	v_add_f16_e32 v10, v46, v63
	v_lshrrev_b32_e32 v66, 16, v26
	v_add_f16_e32 v12, v57, v36
	v_lshrrev_b32_e32 v36, 16, v47
	v_pk_fma_f16 v57, 0x3853b482, v25, v61 op_sel:[0,0,1] op_sel_hi:[1,1,0]
	v_mul_f16_e32 v61, 0x3853, v25
	v_mul_f16_e32 v63, 0xba0c, v34
	;; [unrolled: 1-line block ×3, first 2 shown]
	v_add_f16_e32 v12, v36, v12
	v_lshrrev_b32_e32 v34, 16, v57
	v_fma_f16 v68, v66, 0x3abb, -v61
	v_fmamk_f16 v69, v26, 0xb93d, v63
	v_fma_f16 v70, v66, 0xb93d, -v65
	v_add_f16_e32 v36, v56, v10
	v_add_f16_e32 v10, v34, v12
	v_add_f16_e32 v11, v68, v11
	v_add_f16_e32 v12, v69, v13
	v_add_f16_e32 v13, v70, v67
	v_mul_lo_u16 v34, v32, 11
	global_wb scope:SCOPE_SE
	s_barrier_signal -1
	s_barrier_wait -1
	global_inv scope:SCOPE_SE
	s_and_saveexec_b32 s0, vcc_lo
	s_cbranch_execz .LBB0_7
; %bb.6:
	v_pk_add_f16 v1, v1, v0
	v_mul_f16_e32 v67, 0x3abb, v17
	v_mul_f16_e32 v69, 0x36a6, v50
	;; [unrolled: 1-line block ×4, first 2 shown]
	v_pk_add_f16 v1, v8, v1
	v_sub_f16_e32 v30, v67, v30
	v_mul_f16_e32 v74, 0xb08e, v23
	v_add_f16_e32 v39, v39, v69
	v_sub_f16_e32 v29, v71, v29
	v_pk_add_f16 v1, v9, v1
	v_add_f16_e32 v30, v30, v0
	v_bfi_b32 v27, 0xffff, v28, v27
	v_mul_f16_e32 v50, 0xb08e, v50
	v_mul_f16_e32 v75, 0xbbad, v60
	v_pk_add_f16 v1, v6, v1
	v_add_f16_e32 v39, v39, v15
	v_add_f16_e32 v44, v44, v72
	;; [unrolled: 1-line block ×3, first 2 shown]
	v_sub_f16_e32 v9, v74, v38
	v_pk_add_f16 v1, v7, v1
	v_bfi_b32 v28, 0xffff, v37, v33
	v_mul_f16_e32 v70, 0xb08e, v17
	v_mul_f16_e32 v55, 0xbbad, v55
	v_add_f16_e32 v45, v45, v50
	v_pk_add_f16 v1, v4, v1
	v_pk_add_f16 v4, v27, v0 op_sel:[0,1] op_sel_hi:[1,0]
	v_mul_f16_e32 v50, 0xb93d, v21
	v_mul_f16_e32 v77, 0xb08e, v64
	v_add_f16_e32 v39, v44, v39
	v_pk_add_f16 v1, v5, v1
	v_add_f16_e32 v44, v51, v75
	v_add_f16_e32 v6, v9, v29
	v_bfi_b32 v29, 0xffff, v41, v40
	v_pk_mul_f16 v27, 0xbbad, v17 op_sel_hi:[0,1]
	v_pk_add_f16 v4, v28, v4
	v_pk_add_f16 v1, v2, v1
	v_add_f16_e32 v52, v52, v55
	v_mul_f16_e32 v55, 0xbbad, v26
	v_sub_f16_e32 v43, v70, v43
	v_mul_f16_e32 v70, 0x3abb, v66
	v_add_f16_e32 v39, v44, v39
	v_add_f16_e32 v44, v49, v77
	v_sub_f16_e32 v9, v50, v42
	v_bfi_b32 v7, 0xffff, v47, v46
	v_pk_mul_f16 v28, 0x3abb, v19 op_sel_hi:[0,1]
	v_pk_add_f16 v2, v29, v4
	v_pk_add_f16 v1, v3, v1
	v_pk_fma_f16 v3, 0xb482, v18, v27 op_sel:[0,0,1] op_sel_hi:[0,1,0]
	v_add_f16_e32 v39, v44, v39
	v_add_f16_e32 v44, v61, v70
	;; [unrolled: 1-line block ×3, first 2 shown]
	v_sub_f16_e32 v9, v55, v53
	v_bfi_b32 v33, 0xffff, v57, v56
	v_pk_fma_f16 v29, 0x3853, v20, v28 op_sel:[0,0,1] op_sel_hi:[0,1,0] neg_lo:[0,1,0] neg_hi:[0,1,0]
	v_pk_mul_f16 v37, 0xb93d, v23 op_sel_hi:[0,1]
	v_pk_add_f16 v2, v7, v2
	v_pk_add_f16 v3, v3, v0 op_sel:[0,1] op_sel_hi:[1,0]
	v_pk_fma_f16 v28, 0x3853, v20, v28 op_sel:[0,0,1] op_sel_hi:[0,1,0]
	s_wait_alu 0xfffe
	v_alignbit_b32 v68, s0, v0, 16
	v_add_f16_e32 v30, v44, v39
	v_add_f16_e32 v6, v9, v6
	v_pk_fma_f16 v5, 0xb482, v18, v27 op_sel:[0,0,1] op_sel_hi:[0,1,0] neg_lo:[0,1,0] neg_hi:[0,1,0]
	v_pk_mul_f16 v27, 0x36a6, v21 op_sel_hi:[0,1]
	v_pk_add_f16 v2, v33, v2
	v_pk_add_f16 v3, v28, v3
	v_pk_fma_f16 v28, 0xba0c, v22, v37 op_sel:[0,0,1] op_sel_hi:[0,1,0]
	v_pk_add_f16 v4, v5, v68
	v_pk_fma_f16 v33, 0x3b47, v24, v27 op_sel:[0,0,1] op_sel_hi:[0,1,0] neg_lo:[0,1,0] neg_hi:[0,1,0]
	v_pk_add_f16 v1, v16, v1
	v_alignbit_b32 v16, v30, v2, 16
	v_pk_add_f16 v3, v28, v3
	v_pk_fma_f16 v27, 0x3b47, v24, v27 op_sel:[0,0,1] op_sel_hi:[0,1,0]
	v_alignbit_b32 v5, s0, v5, 16
	v_pack_b32_f16 v2, v6, v2
	v_pk_mul_f16 v6, 0xba0c, v18 op_sel_hi:[0,1]
	v_pk_add_f16 v4, v29, v4
	v_pk_fma_f16 v7, 0xba0c, v22, v37 op_sel:[0,0,1] op_sel_hi:[0,1,0] neg_lo:[0,1,0] neg_hi:[0,1,0]
	v_pk_add_f16 v3, v27, v3
	v_pk_add_f16 v5, v5, v0
	v_alignbit_b32 v18, s0, v29, 16
	v_pk_fma_f16 v27, 0xb93d, v17, v6 op_sel:[0,0,1] op_sel_hi:[0,1,0]
	v_pk_fma_f16 v6, 0xb93d, v17, v6 op_sel:[0,0,1] op_sel_hi:[0,1,0] neg_lo:[0,0,1] neg_hi:[0,0,1]
	v_pk_mul_f16 v17, 0x3beb, v20 op_sel_hi:[0,1]
	v_mul_f16_e32 v73, 0xbbad, v19
	v_pk_add_f16 v4, v7, v4
	v_pk_mul_f16 v38, 0xb08e, v26 op_sel_hi:[0,1]
	v_pk_add_f16 v5, v18, v5
	v_alignbit_b32 v7, s0, v7, 16
	v_bfi_b32 v18, 0xffff, v27, v6
	v_pk_fma_f16 v28, 0xb08e, v19, v17 op_sel:[0,0,1] op_sel_hi:[0,1,0]
	v_pk_fma_f16 v17, 0xb08e, v19, v17 op_sel:[0,0,1] op_sel_hi:[0,1,0] neg_lo:[0,0,1] neg_hi:[0,0,1]
	v_pk_mul_f16 v19, 0xb853, v22 op_sel_hi:[0,1]
	v_mul_f16_e32 v76, 0x36a6, v23
	v_pk_fma_f16 v20, 0xbbeb, v25, v38 op_sel:[0,0,1] op_sel_hi:[0,1,0]
	v_pk_add_f16 v5, v7, v5
	v_alignbit_b32 v7, s0, v33, 16
	v_pk_add_f16 v18, v18, v0
	v_bfi_b32 v22, 0xffff, v28, v17
	v_pk_fma_f16 v29, 0x3abb, v23, v19 op_sel:[0,0,1] op_sel_hi:[0,1,0]
	v_pk_fma_f16 v19, 0x3abb, v23, v19 op_sel:[0,0,1] op_sel_hi:[0,1,0] neg_lo:[0,0,1] neg_hi:[0,0,1]
	v_lshrrev_b32_e32 v23, 16, v27
	v_mul_f16_e32 v60, 0x36a6, v60
	v_add_f16_e32 v45, v45, v15
	v_add_f16_e32 v43, v43, v0
	v_sub_f16_e32 v48, v73, v48
	v_pk_add_f16 v3, v20, v3
	v_pk_add_f16 v5, v7, v5
	;; [unrolled: 1-line block ×3, first 2 shown]
	v_bfi_b32 v18, 0xffff, v29, v19
	v_add_f16_e32 v15, v23, v15
	v_lshrrev_b32_e32 v20, 16, v28
	v_pk_mul_f16 v23, 0xb482, v24 op_sel_hi:[0,1]
	v_add_f16_e32 v0, v6, v0
	v_mul_f16_e32 v78, 0x3abb, v21
	v_mul_f16_e32 v64, 0x3abb, v64
	v_add_f16_e32 v45, v52, v45
	v_add_f16_e32 v52, v59, v60
	;; [unrolled: 1-line block ×3, first 2 shown]
	v_sub_f16_e32 v48, v76, v54
	v_pk_add_f16 v7, v18, v7
	v_add_f16_e32 v6, v20, v15
	v_lshrrev_b32_e32 v15, 16, v29
	v_pk_fma_f16 v18, 0xbbad, v21, v23 op_sel:[0,0,1] op_sel_hi:[0,1,0]
	v_pk_mul_f16 v20, 0x3b47, v25 op_sel_hi:[0,1]
	v_add_f16_e32 v0, v17, v0
	v_pk_fma_f16 v30, 0xbbeb, v25, v38 op_sel:[0,0,1] op_sel_hi:[0,1,0] neg_lo:[0,1,0] neg_hi:[0,1,0]
	v_mul_f16_e32 v79, 0xb93d, v26
	v_mul_f16_e32 v59, 0xb93d, v66
	v_add_f16_e32 v45, v52, v45
	v_add_f16_e32 v52, v62, v64
	;; [unrolled: 1-line block ×3, first 2 shown]
	v_sub_f16_e32 v48, v78, v58
	v_pk_fma_f16 v17, 0xbbad, v21, v23 op_sel:[0,0,1] op_sel_hi:[0,1,0] neg_lo:[0,0,1] neg_hi:[0,0,1]
	v_add_f16_e32 v6, v15, v6
	v_lshrrev_b32_e32 v15, 16, v18
	v_pk_fma_f16 v21, 0x36a6, v26, v20 op_sel:[0,0,1] op_sel_hi:[0,1,0]
	v_add_f16_e32 v0, v19, v0
	v_pk_add_f16 v4, v33, v4
	v_alignbit_b32 v22, s0, v30, 16
	v_add_f16_e32 v45, v52, v45
	v_add_f16_e32 v52, v65, v59
	v_add_f16_e32 v43, v48, v43
	v_sub_f16_e32 v8, v79, v63
	v_bfi_b32 v18, 0xffff, v18, v17
	v_pk_fma_f16 v19, 0x36a6, v26, v20 op_sel:[0,0,1] op_sel_hi:[0,1,0] neg_lo:[0,0,1] neg_hi:[0,0,1]
	v_add_f16_e32 v6, v15, v6
	v_lshrrev_b32_e32 v15, 16, v21
	v_add_f16_e32 v0, v17, v0
	v_and_b32_e32 v9, 0xffff, v34
	v_pk_add_f16 v4, v30, v4
	v_pk_add_f16 v5, v22, v5
	v_add_f16_e32 v45, v52, v45
	v_add_f16_e32 v8, v8, v43
	v_pk_add_f16 v7, v18, v7
	v_bfi_b32 v17, 0xffff, v21, v19
	v_add_f16_e32 v6, v15, v6
	v_add_f16_e32 v0, v19, v0
	v_lshlrev_b32_e32 v9, 2, v9
	v_alignbit_b32 v4, v4, v3, 16
	v_pack_b32_f16 v3, v5, v3
	v_pk_add_f16 v5, v17, v7
	v_pack_b32_f16 v7, v8, v45
	v_pack_b32_f16 v0, v0, v6
	v_perm_b32 v6, v13, v12, 0x5040100
	v_perm_b32 v8, v36, v35, 0x5040100
	;; [unrolled: 1-line block ×3, first 2 shown]
	ds_store_b32 v9, v1
	ds_store_2addr_b32 v9, v2, v16 offset0:1 offset1:2
	ds_store_2addr_b32 v9, v3, v4 offset0:5 offset1:6
	;; [unrolled: 1-line block ×5, first 2 shown]
.LBB0_7:
	s_wait_alu 0xfffe
	s_or_b32 exec_lo, exec_lo, s0
	v_and_b32_e32 v0, 0xff, v32
	v_add_nc_u16 v4, v32, 0xa5
	v_add_nc_u16 v6, v32, 0x14a
	v_add_co_u32 v2, null, 0x1ef, v32
	s_delay_alu instid0(VALU_DEP_4) | instskip(NEXT) | instid1(VALU_DEP_4)
	v_mul_lo_u16 v0, 0x75, v0
	v_and_b32_e32 v5, 0xffff, v4
	s_delay_alu instid0(VALU_DEP_4) | instskip(NEXT) | instid1(VALU_DEP_4)
	v_and_b32_e32 v3, 0xffff, v6
	v_and_b32_e32 v7, 0xffff, v2
	s_load_b128 s[4:7], s[4:5], 0x0
	v_lshrrev_b16 v0, 8, v0
	v_mul_u32_u24_e32 v16, 0xba2f, v5
	v_mul_u32_u24_e32 v15, 0xba2f, v3
	global_wb scope:SCOPE_SE
	s_wait_dscnt 0x0
	s_wait_kmcnt 0x0
	s_barrier_signal -1
	v_sub_nc_u16 v1, v32, v0
	v_lshrrev_b32_e32 v19, 19, v16
	v_lshrrev_b32_e32 v20, 19, v15
	s_barrier_wait -1
	global_inv scope:SCOPE_SE
	v_lshrrev_b16 v1, 1, v1
	v_cmp_gt_u16_e64 s0, 0x6e, v32
	v_mul_lo_u16 v3, v20, 11
	s_delay_alu instid0(VALU_DEP_3) | instskip(NEXT) | instid1(VALU_DEP_2)
	v_and_b32_e32 v1, 0x7f, v1
	v_sub_nc_u16 v23, v6, v3
	s_delay_alu instid0(VALU_DEP_2) | instskip(SKIP_1) | instid1(VALU_DEP_3)
	v_add_nc_u16 v0, v1, v0
	v_mul_u32_u24_e32 v1, 0xba2f, v7
	v_mad_u16 v20, v20, 22, v23
	s_delay_alu instid0(VALU_DEP_3) | instskip(NEXT) | instid1(VALU_DEP_3)
	v_lshrrev_b16 v9, 3, v0
	v_lshrrev_b32_e32 v21, 19, v1
	v_mul_lo_u16 v1, v19, 11
	s_delay_alu instid0(VALU_DEP_4) | instskip(NEXT) | instid1(VALU_DEP_4)
	v_and_b32_e32 v20, 0xffff, v20
	v_mul_lo_u16 v0, v9, 11
	s_delay_alu instid0(VALU_DEP_4) | instskip(NEXT) | instid1(VALU_DEP_4)
	v_mul_lo_u16 v7, v21, 11
	v_sub_nc_u16 v22, v4, v1
	v_and_b32_e32 v1, 0xffff, v23
	v_and_b32_e32 v9, 0xffff, v9
	v_sub_nc_u16 v0, v32, v0
	v_sub_nc_u16 v24, v2, v7
	v_mad_u16 v19, v19, 22, v22
	v_lshlrev_b32_e32 v1, 2, v1
	v_mul_u32_u24_e32 v9, 22, v9
	v_and_b32_e32 v25, 0xff, v0
	v_and_b32_e32 v0, 0xffff, v22
	;; [unrolled: 1-line block ×3, first 2 shown]
	v_mad_u16 v21, v21, 22, v24
	v_and_b32_e32 v19, 0xffff, v19
	v_lshlrev_b32_e32 v3, 2, v25
	v_lshlrev_b32_e32 v0, 2, v0
	;; [unrolled: 1-line block ×3, first 2 shown]
	v_and_b32_e32 v21, 0xffff, v21
	v_lshlrev_b32_e32 v43, 2, v19
	s_clause 0x3
	global_load_b32 v39, v3, s[2:3]
	global_load_b32 v40, v0, s[2:3]
	global_load_b32 v41, v1, s[2:3]
	global_load_b32 v42, v2, s[2:3]
	v_and_b32_e32 v0, 0xffff, v32
	v_add_lshl_u32 v46, v9, v25, 2
	v_lshlrev_b32_e32 v44, 2, v20
	v_lshlrev_b32_e32 v45, 2, v21
	s_delay_alu instid0(VALU_DEP_4) | instskip(NEXT) | instid1(VALU_DEP_1)
	v_lshlrev_b32_e32 v33, 2, v0
	v_add_nc_u32_e32 v2, 0xa00, v33
	v_add_nc_u32_e32 v7, 0x400, v33
	;; [unrolled: 1-line block ×3, first 2 shown]
	ds_load_2addr_b32 v[0:1], v33 offset1:165
	ds_load_2addr_b32 v[2:3], v2 offset0:20 offset1:185
	ds_load_2addr_b32 v[7:8], v7 offset0:74 offset1:239
	ds_load_2addr_b32 v[17:18], v17 offset0:30 offset1:195
	v_add_nc_u32_e32 v26, 0x600, v33
	v_add_nc_u32_e32 v27, 0xd00, v33
	global_wb scope:SCOPE_SE
	s_wait_loadcnt_dscnt 0x0
	s_barrier_signal -1
	s_barrier_wait -1
	global_inv scope:SCOPE_SE
	v_lshrrev_b32_e32 v28, 16, v0
	v_lshrrev_b32_e32 v22, 16, v2
	;; [unrolled: 1-line block ×12, first 2 shown]
	s_delay_alu instid0(VALU_DEP_4)
	v_mul_f16_e32 v9, v22, v51
	v_mul_f16_e32 v19, v2, v51
	;; [unrolled: 1-line block ×8, first 2 shown]
	v_fma_f16 v2, v2, v39, -v9
	v_fmac_f16_e32 v19, v22, v39
	v_fma_f16 v3, v3, v40, -v20
	v_fmac_f16_e32 v21, v23, v40
	;; [unrolled: 2-line block ×4, first 2 shown]
	v_sub_f16_e32 v2, v0, v2
	v_sub_f16_e32 v18, v28, v19
	;; [unrolled: 1-line block ×8, first 2 shown]
	v_fma_f16 v0, v0, 2.0, -v2
	v_fma_f16 v17, v28, 2.0, -v18
	v_fma_f16 v1, v1, 2.0, -v3
	v_fma_f16 v25, v29, 2.0, -v19
	v_fma_f16 v7, v7, 2.0, -v20
	v_fma_f16 v28, v30, 2.0, -v23
	v_fma_f16 v9, v8, 2.0, -v22
	v_fma_f16 v21, v37, 2.0, -v24
	v_pack_b32_f16 v2, v2, v18
	v_pack_b32_f16 v0, v0, v17
	v_pack_b32_f16 v3, v3, v19
	v_pack_b32_f16 v1, v1, v25
	v_pack_b32_f16 v8, v20, v23
	v_pack_b32_f16 v7, v7, v28
	v_pack_b32_f16 v18, v22, v24
	v_pack_b32_f16 v17, v9, v21
	ds_store_2addr_b32 v46, v0, v2 offset1:11
	ds_store_2addr_b32 v43, v1, v3 offset1:11
	;; [unrolled: 1-line block ×4, first 2 shown]
	global_wb scope:SCOPE_SE
	s_wait_dscnt 0x0
	s_barrier_signal -1
	s_barrier_wait -1
	global_inv scope:SCOPE_SE
	ds_load_2addr_b32 v[7:8], v33 offset1:165
	ds_load_2addr_b32 v[2:3], v26 offset0:56 offset1:221
	ds_load_2addr_b32 v[0:1], v27 offset0:48 offset1:213
	s_and_saveexec_b32 s1, s0
	s_cbranch_execz .LBB0_9
; %bb.8:
	ds_load_b32 v9, v33 offset:1320
	ds_load_b32 v22, v33 offset:3080
	;; [unrolled: 1-line block ×3, first 2 shown]
	s_wait_dscnt 0x2
	v_lshrrev_b32_e32 v21, 16, v9
	s_wait_dscnt 0x1
	v_lshrrev_b32_e32 v24, 16, v22
	;; [unrolled: 2-line block ×3, first 2 shown]
.LBB0_9:
	s_wait_alu 0xfffe
	s_or_b32 exec_lo, exec_lo, s1
	v_lshrrev_b16 v17, 1, v32
	v_lshrrev_b32_e32 v23, 20, v16
	v_lshrrev_b32_e32 v37, 20, v15
	s_wait_dscnt 0x1
	v_lshrrev_b32_e32 v30, 16, v3
	s_wait_dscnt 0x0
	v_lshrrev_b32_e32 v50, 16, v1
	v_and_b32_e32 v17, 0x7f, v17
	v_mul_lo_u16 v16, v23, 22
	s_delay_alu instid0(VALU_DEP_2) | instskip(SKIP_1) | instid1(VALU_DEP_3)
	v_mul_lo_u16 v15, 0xbb, v17
	v_mul_lo_u16 v17, v37, 22
	v_sub_nc_u16 v28, v4, v16
	s_delay_alu instid0(VALU_DEP_3) | instskip(NEXT) | instid1(VALU_DEP_3)
	v_lshrrev_b16 v27, 11, v15
	v_sub_nc_u16 v38, v6, v17
	s_delay_alu instid0(VALU_DEP_3)
	v_lshlrev_b16 v15, 3, v28
	v_mad_u16 v23, 0x42, v23, v28
	v_lshrrev_b32_e32 v28, 16, v0
	v_mul_lo_u16 v6, v27, 22
	v_lshlrev_b16 v16, 3, v38
	v_and_b32_e32 v15, 0xffff, v15
	v_and_b32_e32 v29, 0xffff, v23
	v_lshrrev_b32_e32 v23, 16, v8
	v_sub_nc_u16 v6, v32, v6
	v_and_b32_e32 v17, 0xffff, v16
	v_add_co_u32 v15, s1, s2, v15
	s_wait_alu 0xf1ff
	v_add_co_ci_u32_e64 v16, null, s3, 0, s1
	v_and_b32_e32 v6, 0xff, v6
	v_add_co_u32 v25, s1, s2, v17
	s_wait_alu 0xf1ff
	v_add_co_ci_u32_e64 v26, null, s3, 0, s1
	s_delay_alu instid0(VALU_DEP_3)
	v_lshlrev_b32_e32 v18, 3, v6
	v_lshlrev_b32_e32 v48, 2, v29
	s_clause 0x2
	global_load_b64 v[19:20], v18, s[2:3] offset:44
	global_load_b64 v[17:18], v[15:16], off offset:44
	global_load_b64 v[15:16], v[25:26], off offset:44
	v_and_b32_e32 v25, 0xffff, v27
	v_lshrrev_b32_e32 v27, 16, v2
	v_lshrrev_b32_e32 v26, 16, v7
	global_wb scope:SCOPE_SE
	s_wait_loadcnt 0x0
	s_barrier_signal -1
	v_mul_u32_u24_e32 v25, 0x42, v25
	s_barrier_wait -1
	global_inv scope:SCOPE_SE
	v_add_lshl_u32 v53, v25, v6, 2
	v_lshrrev_b32_e32 v63, 16, v19
	v_lshrrev_b32_e32 v62, 16, v20
	;; [unrolled: 1-line block ×6, first 2 shown]
	v_mul_f16_e32 v6, v27, v63
	v_mul_f16_e32 v25, v2, v63
	;; [unrolled: 1-line block ×12, first 2 shown]
	v_fma_f16 v2, v2, v19, -v6
	v_fmac_f16_e32 v25, v27, v19
	v_fma_f16 v0, v0, v20, -v29
	v_fmac_f16_e32 v56, v28, v20
	;; [unrolled: 2-line block ×6, first 2 shown]
	v_add_f16_e32 v22, v2, v0
	v_sub_f16_e32 v27, v25, v56
	v_add_f16_e32 v24, v26, v25
	v_add_f16_e32 v25, v25, v56
	;; [unrolled: 1-line block ×5, first 2 shown]
	v_sub_f16_e32 v2, v2, v0
	v_sub_f16_e32 v30, v58, v64
	v_add_f16_e32 v50, v23, v58
	v_add_f16_e32 v58, v9, v6
	;; [unrolled: 1-line block ×3, first 2 shown]
	v_sub_f16_e32 v65, v66, v68
	v_add_f16_e32 v67, v21, v66
	v_add_f16_e32 v66, v66, v68
	v_fma_f16 v7, -0.5, v22, v7
	v_fmac_f16_e32 v26, -0.5, v25
	v_add_f16_e32 v28, v8, v3
	v_sub_f16_e32 v3, v3, v1
	v_fmac_f16_e32 v8, -0.5, v29
	v_fmac_f16_e32 v23, -0.5, v57
	v_sub_f16_e32 v6, v6, v12
	v_add_f16_e32 v0, v13, v0
	v_add_f16_e32 v56, v24, v56
	v_add_f16_e32 v13, v58, v12
	v_fmac_f16_e32 v9, -0.5, v59
	v_fmac_f16_e32 v21, -0.5, v66
	v_fmamk_f16 v12, v27, 0x3aee, v7
	v_fmac_f16_e32 v7, 0xbaee, v27
	v_fmamk_f16 v27, v2, 0xbaee, v26
	v_fmac_f16_e32 v26, 0x3aee, v2
	v_add_f16_e32 v1, v28, v1
	v_add_f16_e32 v28, v50, v64
	v_fmamk_f16 v2, v30, 0x3aee, v8
	v_fmamk_f16 v29, v3, 0xbaee, v23
	v_fmac_f16_e32 v8, 0xbaee, v30
	v_fmac_f16_e32 v23, 0x3aee, v3
	v_add_f16_e32 v24, v67, v68
	v_fmamk_f16 v22, v65, 0x3aee, v9
	v_fmac_f16_e32 v9, 0xbaee, v65
	v_fmamk_f16 v25, v6, 0xbaee, v21
	v_pack_b32_f16 v0, v0, v56
	v_pack_b32_f16 v3, v12, v27
	v_fmac_f16_e32 v21, 0x3aee, v6
	v_pack_b32_f16 v7, v7, v26
	v_pack_b32_f16 v1, v1, v28
	;; [unrolled: 1-line block ×4, first 2 shown]
	ds_store_2addr_b32 v53, v0, v3 offset1:22
	ds_store_b32 v53, v7 offset:176
	ds_store_2addr_b32 v48, v1, v2 offset1:22
	ds_store_b32 v48, v12 offset:176
	s_and_saveexec_b32 s1, s0
	s_cbranch_execz .LBB0_11
; %bb.10:
	v_mad_u16 v0, 0x42, v37, v38
	v_perm_b32 v1, v24, v13, 0x5040100
	v_perm_b32 v2, v25, v22, 0x5040100
	;; [unrolled: 1-line block ×3, first 2 shown]
	s_delay_alu instid0(VALU_DEP_4) | instskip(NEXT) | instid1(VALU_DEP_1)
	v_and_b32_e32 v0, 0xffff, v0
	v_lshlrev_b32_e32 v0, 2, v0
	ds_store_2addr_b32 v0, v1, v2 offset1:22
	ds_store_b32 v0, v3 offset:176
.LBB0_11:
	s_wait_alu 0xfffe
	s_or_b32 exec_lo, exec_lo, s1
	global_wb scope:SCOPE_SE
	s_wait_dscnt 0x0
	s_barrier_signal -1
	s_barrier_wait -1
	global_inv scope:SCOPE_SE
	ds_load_b32 v12, v33
	ds_load_b32 v29, v33 offset:1056
	ds_load_b32 v28, v33 offset:2112
	;; [unrolled: 1-line block ×4, first 2 shown]
	v_cmp_gt_u16_e64 s1, 0x63, v32
	s_delay_alu instid0(VALU_DEP_1)
	s_and_saveexec_b32 s8, s1
	s_cbranch_execz .LBB0_13
; %bb.12:
	ds_load_b32 v8, v33 offset:660
	ds_load_b32 v13, v33 offset:1716
	;; [unrolled: 1-line block ×5, first 2 shown]
	s_wait_dscnt 0x4
	v_lshrrev_b32_e32 v23, 16, v8
	s_wait_dscnt 0x3
	v_lshrrev_b32_e32 v24, 16, v13
	;; [unrolled: 2-line block ×5, first 2 shown]
.LBB0_13:
	s_wait_alu 0xfffe
	s_or_b32 exec_lo, exec_lo, s8
	v_and_b32_e32 v0, 0xff, v32
	v_mul_u32_u24_e32 v1, 0xf83f, v5
	s_wait_dscnt 0x3
	v_lshrrev_b32_e32 v68, 16, v29
	s_wait_dscnt 0x2
	v_lshrrev_b32_e32 v69, 16, v28
	;; [unrolled: 2-line block ×3, first 2 shown]
	v_mul_lo_u16 v0, 0xf9, v0
	v_lshrrev_b32_e32 v30, 22, v1
	s_wait_dscnt 0x0
	v_lshrrev_b32_e32 v75, 16, v26
	v_lshrrev_b32_e32 v80, 16, v12
	v_lshrrev_b16 v50, 14, v0
	v_mul_lo_u16 v0, 0x42, v30
	s_delay_alu instid0(VALU_DEP_2) | instskip(NEXT) | instid1(VALU_DEP_2)
	v_mul_lo_u16 v1, 0x42, v50
	v_sub_nc_u16 v56, v4, v0
	v_and_b32_e32 v50, 0xffff, v50
	s_delay_alu instid0(VALU_DEP_3) | instskip(NEXT) | instid1(VALU_DEP_3)
	v_sub_nc_u16 v0, v32, v1
	v_lshlrev_b16 v1, 4, v56
	s_delay_alu instid0(VALU_DEP_3) | instskip(SKIP_1) | instid1(VALU_DEP_4)
	v_mul_u32_u24_e32 v58, 0x14a, v50
	v_mad_u16 v50, 0x14a, v30, v56
	v_and_b32_e32 v57, 0xff, v0
	s_delay_alu instid0(VALU_DEP_4) | instskip(NEXT) | instid1(VALU_DEP_2)
	v_and_b32_e32 v0, 0xffff, v1
	v_lshlrev_b32_e32 v2, 4, v57
	s_delay_alu instid0(VALU_DEP_2)
	v_add_co_u32 v0, s8, s2, v0
	s_wait_alu 0xf1ff
	v_add_co_ci_u32_e64 v1, null, s3, 0, s8
	v_add_lshl_u32 v64, v58, v57, 2
	s_clause 0x1
	global_load_b128 v[4:7], v2, s[2:3] offset:220
	global_load_b128 v[0:3], v[0:1], off offset:220
	global_wb scope:SCOPE_SE
	s_wait_loadcnt 0x0
	s_barrier_signal -1
	s_barrier_wait -1
	global_inv scope:SCOPE_SE
	v_lshrrev_b32_e32 v73, 16, v4
	v_lshrrev_b32_e32 v74, 16, v5
	v_lshrrev_b32_e32 v72, 16, v6
	v_lshrrev_b32_e32 v71, 16, v7
	v_lshrrev_b32_e32 v56, 16, v0
	v_lshrrev_b32_e32 v59, 16, v1
	v_lshrrev_b32_e32 v58, 16, v2
	v_lshrrev_b32_e32 v57, 16, v3
	v_mul_f16_e32 v76, v68, v73
	v_mul_f16_e32 v78, v69, v74
	;; [unrolled: 1-line block ×16, first 2 shown]
	v_fma_f16 v29, v29, v4, -v76
	v_fma_f16 v76, v28, v5, -v78
	v_fmac_f16_e32 v79, v69, v5
	v_fma_f16 v81, v27, v6, -v81
	v_fmac_f16_e32 v82, v70, v6
	v_fmac_f16_e32 v77, v68, v4
	v_fma_f16 v83, v26, v7, -v83
	v_fmac_f16_e32 v84, v75, v7
	v_fma_f16 v26, v13, v0, -v85
	;; [unrolled: 2-line block ×5, first 2 shown]
	v_fmac_f16_e32 v30, v11, v3
	v_add_f16_e32 v21, v76, v81
	v_add_f16_e32 v87, v79, v82
	;; [unrolled: 1-line block ×5, first 2 shown]
	v_sub_f16_e32 v85, v77, v84
	v_sub_f16_e32 v22, v29, v76
	v_sub_f16_e32 v25, v83, v81
	v_sub_f16_e32 v70, v76, v29
	v_add_f16_e32 v78, v80, v77
	v_sub_f16_e32 v88, v29, v83
	v_sub_f16_e32 v29, v77, v79
	;; [unrolled: 1-line block ×5, first 2 shown]
	v_add_f16_e32 v93, v24, v13
	v_sub_f16_e32 v94, v26, v24
	v_sub_f16_e32 v95, v9, v13
	v_add_f16_e32 v96, v26, v9
	v_add_f16_e32 v99, v66, v65
	;; [unrolled: 1-line block ×3, first 2 shown]
	v_fma_f16 v105, -0.5, v21, v12
	v_fma_f16 v87, -0.5, v87, v80
	v_sub_f16_e32 v86, v79, v82
	v_sub_f16_e32 v89, v76, v81
	v_fmac_f16_e32 v12, -0.5, v69
	v_fmac_f16_e32 v80, -0.5, v91
	v_sub_f16_e32 v75, v81, v83
	v_sub_f16_e32 v11, v67, v30
	;; [unrolled: 1-line block ×5, first 2 shown]
	v_add_f16_e32 v76, v10, v76
	v_add_f16_e32 v106, v22, v25
	v_add_f16_e32 v21, v78, v79
	v_add_f16_e32 v90, v29, v90
	v_add_f16_e32 v91, v77, v92
	v_fma_f16 v10, -0.5, v93, v8
	v_add_f16_e32 v78, v94, v95
	v_fma_f16 v25, -0.5, v96, v8
	v_fma_f16 v29, -0.5, v99, v23
	v_fma_f16 v79, -0.5, v102, v23
	v_fmamk_f16 v92, v85, 0x3b9c, v105
	v_fmamk_f16 v94, v88, 0xbb9c, v87
	;; [unrolled: 1-line block ×3, first 2 shown]
	v_fmac_f16_e32 v12, 0x3b9c, v86
	v_fmamk_f16 v95, v89, 0x3b9c, v80
	v_fmac_f16_e32 v80, 0xbb9c, v89
	v_fmac_f16_e32 v105, 0xbb9c, v85
	;; [unrolled: 1-line block ×3, first 2 shown]
	v_sub_f16_e32 v97, v24, v26
	v_sub_f16_e32 v98, v13, v9
	v_sub_f16_e32 v100, v67, v66
	v_sub_f16_e32 v101, v30, v65
	v_sub_f16_e32 v103, v66, v67
	v_sub_f16_e32 v104, v65, v30
	v_add_f16_e32 v107, v70, v75
	v_add_f16_e32 v81, v76, v81
	;; [unrolled: 1-line block ×3, first 2 shown]
	v_fmamk_f16 v22, v11, 0xbb9c, v10
	v_fmamk_f16 v21, v28, 0x3b9c, v25
	;; [unrolled: 1-line block ×4, first 2 shown]
	v_fmac_f16_e32 v92, 0x38b4, v86
	v_fmac_f16_e32 v94, 0xb8b4, v89
	;; [unrolled: 1-line block ×8, first 2 shown]
	v_add_f16_e32 v70, v97, v98
	v_add_f16_e32 v69, v100, v101
	;; [unrolled: 1-line block ×5, first 2 shown]
	v_fmac_f16_e32 v22, 0xb8b4, v28
	v_fmac_f16_e32 v21, 0xb8b4, v11
	;; [unrolled: 1-line block ×15, first 2 shown]
	v_pack_b32_f16 v81, v81, v82
	v_pack_b32_f16 v82, v92, v94
	v_fmac_f16_e32 v76, 0x34f2, v77
	v_pack_b32_f16 v83, v93, v95
	v_pack_b32_f16 v12, v12, v80
	;; [unrolled: 1-line block ×3, first 2 shown]
	ds_store_2addr_b32 v64, v81, v82 offset1:66
	ds_store_2addr_b32 v64, v83, v12 offset0:132 offset1:198
	ds_store_b32 v64, v80 offset:1056
	s_and_saveexec_b32 s8, s1
	s_cbranch_execz .LBB0_15
; %bb.14:
	v_mul_f16_e32 v12, 0x3b9c, v11
	v_mul_f16_e32 v82, 0x38b4, v68
	;; [unrolled: 1-line block ×3, first 2 shown]
	v_add_f16_e32 v23, v23, v67
	v_add_f16_e32 v8, v8, v26
	v_mul_f16_e32 v80, 0x3b9c, v27
	v_mul_f16_e32 v81, 0x38b4, v28
	v_mul_f16_e32 v28, 0x3b9c, v28
	v_mul_f16_e32 v27, 0x38b4, v27
	v_sub_f16_e32 v29, v29, v68
	v_add_f16_e32 v23, v23, v66
	v_add_f16_e32 v8, v8, v24
	;; [unrolled: 1-line block ×4, first 2 shown]
	v_mul_f16_e32 v11, 0x38b4, v11
	v_sub_f16_e32 v25, v25, v28
	v_mul_f16_e32 v78, 0x34f2, v78
	v_mul_f16_e32 v67, 0x34f2, v69
	v_sub_f16_e32 v12, v29, v27
	v_add_f16_e32 v23, v23, v65
	v_add_f16_e32 v8, v8, v13
	;; [unrolled: 1-line block ×3, first 2 shown]
	v_mul_f16_e32 v70, 0x34f2, v70
	v_mul_f16_e32 v77, 0x34f2, v77
	v_sub_f16_e32 v79, v79, v82
	v_add_f16_e32 v11, v11, v25
	v_add_f16_e32 v12, v67, v12
	;; [unrolled: 1-line block ×3, first 2 shown]
	v_and_b32_e32 v23, 0xffff, v50
	v_add_f16_e32 v8, v8, v9
	v_add_f16_e32 v9, v78, v10
	;; [unrolled: 1-line block ×4, first 2 shown]
	v_lshlrev_b32_e32 v11, 2, v23
	v_pack_b32_f16 v8, v8, v13
	v_pack_b32_f16 v9, v9, v12
	v_perm_b32 v12, v76, v21, 0x5040100
	v_pack_b32_f16 v10, v10, v26
	v_perm_b32 v13, v75, v22, 0x5040100
	ds_store_2addr_b32 v11, v8, v9 offset1:66
	ds_store_2addr_b32 v11, v10, v12 offset0:132 offset1:198
	ds_store_b32 v11, v13 offset:1056
.LBB0_15:
	s_wait_alu 0xfffe
	s_or_b32 exec_lo, exec_lo, s8
	v_mad_co_u64_u32 v[8:9], null, v32, 12, s[2:3]
	global_wb scope:SCOPE_SE
	s_wait_dscnt 0x0
	s_barrier_signal -1
	s_barrier_wait -1
	global_inv scope:SCOPE_SE
	v_add_nc_u32_e32 v77, 0x400, v33
	v_add_nc_u32_e32 v78, 0xa00, v33
	s_clause 0x1
	global_load_b96 v[11:13], v[8:9], off offset:1276
	global_load_b96 v[8:10], v[8:9], off offset:3256
	v_add_nc_u32_e32 v87, 0xf00, v33
	ds_load_2addr_b32 v[23:24], v33 offset1:165
	ds_load_2addr_b32 v[25:26], v77 offset0:74 offset1:239
	ds_load_2addr_b32 v[27:28], v78 offset0:20 offset1:185
	;; [unrolled: 1-line block ×3, first 2 shown]
	s_wait_dscnt 0x3
	v_lshrrev_b32_e32 v79, 16, v23
	s_wait_dscnt 0x2
	v_lshrrev_b32_e32 v81, 16, v25
	;; [unrolled: 2-line block ×4, first 2 shown]
	v_lshrrev_b32_e32 v84, 16, v26
	v_lshrrev_b32_e32 v85, 16, v28
	;; [unrolled: 1-line block ×4, first 2 shown]
	s_wait_loadcnt 0x1
	v_lshrrev_b32_e32 v70, 16, v11
	v_lshrrev_b32_e32 v69, 16, v12
	v_lshrrev_b32_e32 v68, 16, v13
	s_wait_loadcnt 0x0
	v_lshrrev_b32_e32 v67, 16, v8
	v_lshrrev_b32_e32 v66, 16, v9
	;; [unrolled: 1-line block ×3, first 2 shown]
	v_mul_f16_e32 v88, v81, v70
	v_mul_f16_e32 v89, v25, v70
	;; [unrolled: 1-line block ×12, first 2 shown]
	v_fma_f16 v25, v25, v11, -v88
	v_fmac_f16_e32 v89, v81, v11
	v_fma_f16 v27, v27, v12, -v90
	v_fmac_f16_e32 v91, v82, v12
	;; [unrolled: 2-line block ×6, first 2 shown]
	v_sub_f16_e32 v81, v23, v27
	v_sub_f16_e32 v83, v79, v91
	;; [unrolled: 1-line block ×8, first 2 shown]
	v_fma_f16 v23, v23, 2.0, -v81
	v_fma_f16 v90, v79, 2.0, -v83
	;; [unrolled: 1-line block ×4, first 2 shown]
	v_sub_f16_e32 v28, v81, v29
	v_fma_f16 v29, v24, 2.0, -v86
	v_fma_f16 v89, v80, 2.0, -v88
	v_fma_f16 v80, v26, 2.0, -v30
	v_fma_f16 v91, v95, 2.0, -v84
	v_add_f16_e32 v82, v83, v27
	v_sub_f16_e32 v26, v86, v84
	v_add_f16_e32 v79, v88, v30
	v_sub_f16_e32 v27, v23, v25
	v_sub_f16_e32 v84, v90, v85
	v_sub_f16_e32 v25, v29, v80
	v_sub_f16_e32 v80, v89, v91
	v_fma_f16 v24, v81, 2.0, -v28
	v_fma_f16 v85, v83, 2.0, -v82
	;; [unrolled: 1-line block ×8, first 2 shown]
	v_pack_b32_f16 v88, v28, v82
	v_pack_b32_f16 v91, v26, v79
	;; [unrolled: 1-line block ×8, first 2 shown]
	ds_store_2addr_b32 v87, v88, v91 offset0:30 offset1:195
	ds_store_2addr_b32 v77, v89, v92 offset0:74 offset1:239
	;; [unrolled: 1-line block ×3, first 2 shown]
	ds_store_2addr_b32 v33, v94, v95 offset1:165
	global_wb scope:SCOPE_SE
	s_wait_dscnt 0x0
	s_barrier_signal -1
	s_barrier_wait -1
	global_inv scope:SCOPE_SE
	s_and_saveexec_b32 s2, vcc_lo
	s_cbranch_execz .LBB0_17
; %bb.16:
	global_load_b32 v77, v31, s[14:15] offset:5280
	s_add_nc_u64 s[8:9], s[14:15], 0x14a0
	s_clause 0x9
	global_load_b32 v95, v31, s[8:9] offset:480
	global_load_b32 v96, v31, s[8:9] offset:960
	;; [unrolled: 1-line block ×10, first 2 shown]
	ds_load_b32 v78, v33
	v_add_nc_u32_e32 v105, 0x400, v31
	v_add_nc_u32_e32 v106, 0x800, v31
	;; [unrolled: 1-line block ×4, first 2 shown]
	s_wait_dscnt 0x0
	v_lshrrev_b32_e32 v87, 16, v78
	s_wait_loadcnt 0x9
	v_lshrrev_b32_e32 v109, 16, v95
	s_wait_loadcnt 0x8
	;; [unrolled: 2-line block ×6, first 2 shown]
	v_lshrrev_b32_e32 v114, 16, v100
	v_lshrrev_b32_e32 v88, 16, v77
	s_wait_loadcnt 0x3
	v_lshrrev_b32_e32 v115, 16, v101
	s_wait_loadcnt 0x2
	;; [unrolled: 2-line block ×4, first 2 shown]
	v_lshrrev_b32_e32 v118, 16, v104
	v_mul_f16_e32 v89, v87, v88
	v_mul_f16_e32 v88, v78, v88
	s_delay_alu instid0(VALU_DEP_2) | instskip(NEXT) | instid1(VALU_DEP_2)
	v_fma_f16 v78, v78, v77, -v89
	v_fmac_f16_e32 v88, v87, v77
	s_delay_alu instid0(VALU_DEP_1)
	v_pack_b32_f16 v77, v78, v88
	ds_store_b32 v33, v77
	ds_load_2addr_b32 v[77:78], v31 offset0:120 offset1:240
	ds_load_2addr_b32 v[87:88], v105 offset0:104 offset1:224
	;; [unrolled: 1-line block ×5, first 2 shown]
	s_wait_dscnt 0x4
	v_lshrrev_b32_e32 v119, 16, v77
	v_lshrrev_b32_e32 v121, 16, v78
	s_wait_dscnt 0x3
	v_lshrrev_b32_e32 v123, 16, v87
	v_lshrrev_b32_e32 v125, 16, v88
	;; [unrolled: 3-line block ×5, first 2 shown]
	v_mul_f16_e32 v120, v77, v109
	v_mul_f16_e32 v122, v78, v110
	;; [unrolled: 1-line block ×8, first 2 shown]
	v_mul_f16_e64 v128, v89, v113
	v_mul_f16_e64 v130, v90, v114
	v_mul_f16_e32 v113, v127, v113
	v_mul_f16_e64 v114, v129, v114
	v_mul_f16_e64 v132, v91, v115
	;; [unrolled: 1-line block ×9, first 2 shown]
	v_fmac_f16_e32 v120, v119, v95
	v_fmac_f16_e32 v122, v121, v96
	v_fma_f16 v77, v77, v95, -v109
	v_fma_f16 v78, v78, v96, -v110
	v_fmac_f16_e32 v124, v123, v97
	v_fmac_f16_e32 v126, v125, v98
	v_fma_f16 v87, v87, v97, -v111
	v_fma_f16 v88, v88, v98, -v112
	v_fmac_f16_e64 v128, v127, v99
	v_fmac_f16_e64 v130, v129, v100
	v_fma_f16 v89, v89, v99, -v113
	v_fma_f16 v90, v90, v100, -v114
	v_fmac_f16_e64 v132, v131, v101
	v_fmac_f16_e64 v134, v133, v102
	;; [unrolled: 4-line block ×3, first 2 shown]
	v_fma_f16 v93, v93, v103, -v117
	v_fma_f16 v94, v94, v104, -v118
	v_pack_b32_f16 v77, v77, v120
	v_pack_b32_f16 v78, v78, v122
	;; [unrolled: 1-line block ×10, first 2 shown]
	ds_store_2addr_b32 v31, v77, v78 offset0:120 offset1:240
	ds_store_2addr_b32 v105, v87, v88 offset0:104 offset1:224
	;; [unrolled: 1-line block ×5, first 2 shown]
.LBB0_17:
	s_wait_alu 0xfffe
	s_or_b32 exec_lo, exec_lo, s2
	global_wb scope:SCOPE_SE
	s_wait_dscnt 0x0
	s_barrier_signal -1
	s_barrier_wait -1
	global_inv scope:SCOPE_SE
	s_and_saveexec_b32 s2, vcc_lo
	s_cbranch_execz .LBB0_19
; %bb.18:
	v_add_nc_u32_e32 v21, 0x200, v33
	v_add_nc_u32_e32 v22, 0x600, v33
	;; [unrolled: 1-line block ×3, first 2 shown]
	ds_load_2addr_b32 v[23:24], v33 offset1:120
	ds_load_2addr_b32 v[27:28], v21 offset0:112 offset1:232
	v_add_nc_u32_e32 v21, 0xe00, v33
	ds_load_2addr_b32 v[29:30], v22 offset0:96 offset1:216
	ds_load_2addr_b32 v[25:26], v25 offset0:80 offset1:200
	;; [unrolled: 1-line block ×3, first 2 shown]
	ds_load_b32 v35, v33 offset:4800
	s_wait_dscnt 0x5
	v_lshrrev_b32_e32 v81, 16, v23
	v_lshrrev_b32_e32 v85, 16, v24
	s_wait_dscnt 0x4
	v_lshrrev_b32_e32 v84, 16, v27
	v_lshrrev_b32_e32 v82, 16, v28
	;; [unrolled: 3-line block ×5, first 2 shown]
	s_wait_dscnt 0x0
	v_lshrrev_b32_e32 v36, 16, v35
.LBB0_19:
	s_wait_alu 0xfffe
	s_or_b32 exec_lo, exec_lo, s2
	s_delay_alu instid0(VALU_DEP_1)
	v_sub_f16_e32 v97, v85, v36
	v_add_f16_e32 v101, v36, v85
	v_add_f16_e32 v89, v35, v24
	v_sub_f16_e32 v91, v24, v35
	v_add_f16_e32 v102, v75, v84
	v_mul_f16_e32 v105, 0xbb47, v97
	v_sub_f16_e32 v99, v84, v75
	v_mul_f16_e32 v112, 0x36a6, v101
	v_add_f16_e32 v90, v22, v27
	v_mul_f16_e32 v115, 0xbbeb, v97
	v_fma_f16 v77, v89, 0x36a6, -v105
	v_mul_f16_e32 v118, 0xb08e, v101
	v_mul_f16_e32 v106, 0xba0c, v99
	v_fmamk_f16 v78, v91, 0xbb47, v112
	v_sub_f16_e32 v92, v27, v22
	v_mul_f16_e32 v113, 0xb93d, v102
	v_add_f16_e32 v107, v76, v82
	v_fma_f16 v87, v89, 0xb08e, -v115
	v_add_f16_e32 v77, v23, v77
	v_fmamk_f16 v88, v91, 0xbbeb, v118
	v_fma_f16 v93, v90, 0xb93d, -v106
	v_add_f16_e32 v78, v81, v78
	v_fmamk_f16 v95, v92, 0xba0c, v113
	v_sub_f16_e32 v103, v82, v76
	v_mul_f16_e32 v120, 0x3482, v99
	v_mul_f16_e32 v123, 0xbbad, v102
	v_sub_f16_e32 v94, v28, v21
	v_mul_f16_e32 v114, 0xbbad, v107
	v_add_f16_e32 v87, v23, v87
	v_add_f16_e32 v88, v81, v88
	;; [unrolled: 1-line block ×4, first 2 shown]
	v_mul_f16_e32 v111, 0x3482, v103
	v_fma_f16 v96, v90, 0xbbad, -v120
	v_fmamk_f16 v98, v92, 0x3482, v123
	v_add_f16_e32 v78, v95, v78
	v_fmamk_f16 v95, v94, 0x3482, v114
	v_mul_f16_e32 v121, 0x3b47, v103
	v_sub_f16_e32 v104, v86, v79
	v_fma_f16 v100, v93, 0xbbad, -v111
	v_add_f16_e32 v87, v96, v87
	v_add_f16_e32 v88, v98, v88
	;; [unrolled: 1-line block ×4, first 2 shown]
	v_fma_f16 v98, v93, 0x36a6, -v121
	v_add_f16_e32 v95, v26, v29
	v_mul_f16_e32 v116, 0x3beb, v104
	v_mul_f16_e32 v124, 0xb853, v104
	v_add_f16_e32 v77, v100, v77
	v_mul_f16_e32 v125, 0x36a6, v107
	v_sub_f16_e32 v96, v29, v26
	v_mul_f16_e32 v119, 0xb08e, v110
	v_fma_f16 v108, v95, 0xb08e, -v116
	v_add_f16_e32 v87, v98, v87
	v_fma_f16 v109, v95, 0x3abb, -v124
	v_fmamk_f16 v100, v94, 0x3b47, v125
	v_fmamk_f16 v98, v96, 0x3beb, v119
	v_add_f16_e32 v77, v108, v77
	v_mul_f16_e32 v127, 0x3abb, v110
	v_add_f16_e32 v87, v109, v87
	v_sub_f16_e32 v108, v83, v80
	v_add_f16_e32 v109, v80, v83
	v_add_f16_e32 v88, v100, v88
	;; [unrolled: 1-line block ×3, first 2 shown]
	v_fma_f16 v129, 0xb853, v96, v127
	v_add_f16_e32 v98, v25, v30
	v_sub_f16_e32 v100, v30, v25
	v_mul_f16_e32 v117, 0x3853, v108
	v_mul_f16_e32 v122, 0x3abb, v109
	;; [unrolled: 1-line block ×3, first 2 shown]
	v_mul_f16_e64 v128, 0xb93d, v109
	v_add_f16_e64 v88, v129, v88
	v_fma_f16 v129, v98, 0x3abb, -v117
	v_fma_f16 v130, 0x3853, v100, v122
	v_fma_f16 v131, v98, 0xb93d, -v126
	v_fma_f16 v132, 0xba0c, v100, v128
	global_wb scope:SCOPE_SE
	v_add_f16_e64 v77, v129, v77
	v_add_f16_e64 v78, v130, v78
	;; [unrolled: 1-line block ×4, first 2 shown]
	s_barrier_signal -1
	s_barrier_wait -1
	global_inv scope:SCOPE_SE
	s_and_saveexec_b32 s2, vcc_lo
	s_cbranch_execz .LBB0_21
; %bb.20:
	v_mul_f16_e64 v139, 0xba0c, v91
	v_mul_f16_e64 v145, 0x3beb, v92
	;; [unrolled: 1-line block ×5, first 2 shown]
	v_fma_f16 v144, 0xb93d, v101, v139
	v_fma_f16 v149, 0xb08e, v102, v145
	v_mul_f16_e64 v134, 0xba0c, v92
	v_mul_f16_e64 v154, 0xb482, v96
	v_sub_f16_e64 v112, v112, v130
	v_add_f16_e64 v144, v81, v144
	v_mul_f16_e64 v129, 0x36a6, v89
	v_mul_f16_e64 v135, 0xbbad, v90
	;; [unrolled: 1-line block ×4, first 2 shown]
	v_add_f16_e64 v144, v149, v144
	v_fma_f16 v149, 0x3abb, v107, v150
	v_add_f16_e64 v115, v131, v115
	v_add_f16_e32 v112, v81, v112
	v_sub_f16_e64 v113, v113, v134
	v_mul_f16_e64 v153, 0xba0c, v97
	v_add_f16_e64 v144, v149, v144
	v_fma_f16 v149, 0xbbad, v110, v154
	v_mul_f16_e64 v133, 0xb93d, v90
	v_mul_f16_e64 v140, 0x36a6, v93
	;; [unrolled: 1-line block ×4, first 2 shown]
	v_add_f16_e64 v144, v149, v144
	v_fma_f16 v149, 0x36a6, v109, v158
	v_add_f16_e32 v115, v23, v115
	v_add_f16_e64 v120, v135, v120
	v_add_f16_e64 v105, v129, v105
	v_add_f16_e32 v112, v113, v112
	v_sub_f16_e64 v113, v114, v138
	v_fma_f16 v156, v89, 0xb93d, -v153
	v_mul_f16_e64 v157, 0x3beb, v99
	v_mul_f16_e64 v137, 0xbbad, v93
	;; [unrolled: 1-line block ×4, first 2 shown]
	v_add_f16_e64 v144, v149, v144
	v_fma_f16 v149, 0xbbad, v101, v161
	v_mul_f16_e64 v163, 0x3853, v92
	v_fma_f16 v161, v101, 0xbbad, -v161
	v_fma_f16 v139, v101, 0xb93d, -v139
	v_add_f16_e32 v115, v120, v115
	v_add_f16_e64 v120, v140, v121
	v_add_f16_e32 v105, v23, v105
	v_add_f16_e64 v106, v133, v106
	v_add_f16_e32 v112, v113, v112
	v_sub_f16_e64 v113, v119, v143
	v_mul_f16_e32 v101, 0x3abb, v101
	v_add_f16_e64 v156, v23, v156
	v_fma_f16 v159, v90, 0xb08e, -v157
	v_mul_f16_e64 v160, 0xb853, v103
	v_mul_f16_e64 v142, 0xb08e, v95
	v_mul_f16_e64 v152, 0xb93d, v98
	v_add_f16_e64 v149, v81, v149
	v_fma_f16 v165, 0x3abb, v102, v163
	v_mul_f16_e64 v166, 0xba0c, v94
	v_add_f16_e64 v161, v81, v161
	v_fma_f16 v163, v102, 0x3abb, -v163
	v_add_f16_e64 v139, v81, v139
	v_fma_f16 v145, v102, 0xb08e, -v145
	v_add_f16_e32 v115, v120, v115
	v_add_f16_e64 v120, v146, v124
	v_add_f16_e32 v105, v106, v105
	v_add_f16_e64 v106, v137, v111
	v_add_f16_e32 v111, v113, v112
	v_sub_f16_e64 v112, v122, v151
	v_fmamk_f16 v113, v91, 0x3853, v101
	v_mul_f16_e32 v102, 0x36a6, v102
	v_add_f16_e64 v156, v159, v156
	v_fma_f16 v159, v93, 0x3abb, -v160
	v_mul_f16_e64 v162, 0xb482, v104
	v_mul_f16_e64 v148, 0x3abb, v98
	v_mul_f16_e64 v167, 0xb482, v97
	v_add_f16_e64 v149, v165, v149
	v_fma_f16 v165, 0xb93d, v107, v166
	v_mul_f16_e64 v168, 0x3b47, v96
	v_add_f16_e64 v161, v163, v161
	v_fma_f16 v163, v107, 0xb93d, -v166
	v_add_f16_e64 v139, v145, v139
	v_fma_f16 v145, v107, 0x3abb, -v150
	v_add_f16_e32 v114, v120, v115
	v_add_f16_e64 v115, v152, v126
	v_add_f16_e32 v105, v106, v105
	v_add_f16_e64 v106, v142, v116
	v_add_f16_e32 v111, v112, v111
	v_add_f16_e32 v112, v81, v113
	v_fmamk_f16 v113, v92, 0x3b47, v102
	v_mul_f16_e32 v107, 0xb08e, v107
	v_mul_f16_e32 v97, 0xb853, v97
	v_add_f16_e64 v156, v159, v156
	v_fma_f16 v159, v95, 0xbbad, -v162
	v_mul_f16_e64 v164, 0x3b47, v108
	v_mul_f16_e64 v169, 0x3853, v99
	v_add_f16_e64 v149, v165, v149
	v_fma_f16 v165, 0x36a6, v110, v168
	v_add_f16_e64 v161, v163, v161
	v_fma_f16 v163, v110, 0x36a6, -v168
	v_add_f16_e64 v139, v145, v139
	v_fma_f16 v145, v110, 0xbbad, -v154
	v_add_f16_e32 v114, v115, v114
	v_add_f16_e32 v105, v106, v105
	v_add_f16_e64 v106, v148, v117
	v_add_f16_e32 v112, v113, v112
	v_fmamk_f16 v113, v94, 0x3beb, v107
	v_mul_f16_e32 v110, 0xb93d, v110
	v_fmamk_f16 v115, v89, 0x3abb, v97
	v_mul_f16_e32 v99, 0xbb47, v99
	v_add_f16_e32 v24, v24, v23
	v_add_f16_e32 v85, v85, v81
	v_add_f16_e64 v156, v159, v156
	v_fma_f16 v159, v98, 0x36a6, -v164
	v_mul_f16_e64 v172, 0xba0c, v103
	v_add_f16_e32 v105, v106, v105
	v_add_f16_e32 v106, v113, v112
	v_fmamk_f16 v112, v96, 0x3a0c, v110
	v_add_f16_e32 v113, v23, v115
	v_fmamk_f16 v115, v90, 0x36a6, v99
	v_mul_f16_e32 v103, 0xbbeb, v103
	v_add_f16_e32 v24, v27, v24
	v_add_f16_e32 v27, v84, v85
	v_add_f16_e64 v156, v159, v156
	v_fma_f16 v159, v89, 0xbbad, -v167
	v_add_f16_e32 v106, v112, v106
	v_add_f16_e32 v112, v115, v113
	v_fmamk_f16 v113, v93, 0xb08e, v103
	v_mul_f16_e32 v84, 0xba0c, v104
	v_add_f16_e32 v24, v28, v24
	v_add_f16_e32 v27, v82, v27
	v_mul_f16_e64 v170, 0xbbeb, v100
	v_add_f16_e64 v159, v23, v159
	v_fma_f16 v171, v90, 0x3abb, -v169
	v_mul_f16_e64 v173, 0x3b47, v104
	v_add_f16_e32 v104, v113, v112
	v_fmamk_f16 v28, v95, 0xb93d, v84
	v_mul_f16_e32 v82, 0xb482, v108
	v_add_f16_e32 v24, v29, v24
	v_add_f16_e32 v27, v86, v27
	v_mul_f16_e64 v132, 0xbbeb, v91
	v_add_f16_e64 v149, v165, v149
	v_fma_f16 v165, 0xb08e, v109, v170
	v_add_f16_e64 v159, v171, v159
	v_fma_f16 v171, v93, 0xb93d, -v172
	v_add_f16_e32 v28, v28, v104
	v_fmamk_f16 v29, v98, 0xbbad, v82
	v_add_f16_e32 v24, v30, v24
	v_add_f16_e32 v27, v83, v27
	v_mul_f16_e64 v136, 0x3482, v92
	v_sub_f16_e64 v118, v118, v132
	v_add_f16_e64 v149, v165, v149
	v_add_f16_e64 v159, v171, v159
	v_fma_f16 v165, v95, 0x36a6, -v173
	v_mul_f16_e64 v171, 0xbbeb, v108
	v_fmac_f16_e64 v167, 0xbbad, v89
	v_fmac_f16_e64 v153, 0xb93d, v89
	v_fmac_f16_e32 v101, 0xb853, v91
	v_add_f16_e32 v28, v29, v28
	v_fma_f16 v29, v89, 0x3abb, -v97
	v_add_f16_e32 v24, v25, v24
	v_add_f16_e32 v25, v80, v27
	v_mul_f16_e64 v141, 0x3b47, v94
	v_add_f16_e32 v118, v81, v118
	v_sub_f16_e64 v123, v123, v136
	v_add_f16_e64 v159, v165, v159
	v_fma_f16 v165, v98, 0xb08e, -v171
	v_add_f16_e64 v166, v23, v167
	v_fmac_f16_e64 v169, 0x3abb, v90
	v_add_f16_e64 v153, v23, v153
	v_fmac_f16_e64 v157, 0xb08e, v90
	v_add_f16_e32 v27, v81, v101
	v_fmac_f16_e32 v102, 0xbb47, v92
	v_add_f16_e32 v23, v23, v29
	v_fma_f16 v29, v90, 0x36a6, -v99
	v_add_f16_e32 v24, v26, v24
	v_add_f16_e32 v25, v79, v25
	v_mul_f16_e64 v147, 0xb853, v96
	v_add_f16_e32 v118, v123, v118
	v_sub_f16_e64 v123, v125, v141
	v_add_f16_e64 v159, v165, v159
	v_add_f16_e64 v165, v169, v166
	v_fmac_f16_e64 v172, 0xb93d, v93
	v_add_f16_e64 v132, v157, v153
	v_fmac_f16_e64 v160, 0x3abb, v93
	v_mul_f16_e32 v85, 0xbbad, v109
	v_add_f16_e32 v26, v102, v27
	v_fmac_f16_e32 v107, 0xbbeb, v94
	v_add_f16_e32 v23, v29, v23
	v_fma_f16 v27, v93, 0xb08e, -v103
	v_add_f16_e32 v21, v21, v24
	v_add_f16_e32 v24, v76, v25
	v_mul_f16_e64 v155, 0xba0c, v100
	v_add_f16_e32 v118, v123, v118
	v_sub_f16_e64 v123, v127, v147
	v_add_f16_e64 v165, v172, v165
	v_fmac_f16_e64 v173, 0x36a6, v95
	v_add_f16_e64 v132, v160, v132
	v_fmac_f16_e64 v162, 0xbbad, v95
	v_fmamk_f16 v108, v100, 0x3482, v85
	v_add_f16_e32 v25, v107, v26
	v_fmac_f16_e32 v110, 0xba0c, v96
	v_add_f16_e32 v23, v27, v23
	v_fma_f16 v26, v95, 0xb93d, -v84
	v_add_f16_e32 v21, v22, v21
	v_add_f16_e32 v22, v75, v24
	;; [unrolled: 1-line block ×3, first 2 shown]
	v_sub_f16_e64 v121, v128, v155
	v_add_f16_e64 v161, v163, v161
	v_fma_f16 v163, v109, 0xb08e, -v170
	v_add_f16_e64 v150, v173, v165
	v_fmac_f16_e64 v171, 0xb08e, v98
	v_add_f16_e64 v139, v145, v139
	v_fma_f16 v145, v109, 0x36a6, -v158
	v_add_f16_e64 v125, v162, v132
	v_fmac_f16_e64 v164, 0x36a6, v98
	v_add_f16_e32 v86, v108, v106
	v_add_f16_e32 v24, v110, v25
	v_fmac_f16_e32 v85, 0xb482, v100
	v_add_f16_e32 v23, v26, v23
	v_fma_f16 v25, v98, 0xbbad, -v82
	v_and_b32_e32 v26, 0xffff, v34
	v_add_f16_e32 v21, v35, v21
	v_add_f16_e32 v22, v36, v22
	;; [unrolled: 1-line block ×3, first 2 shown]
	v_add_f16_e64 v161, v163, v161
	v_add_f16_e64 v150, v171, v150
	;; [unrolled: 1-line block ×4, first 2 shown]
	v_add_f16_e32 v24, v85, v24
	v_add_f16_e32 v23, v25, v23
	v_lshlrev_b32_e32 v25, 2, v26
	v_pack_b32_f16 v26, v28, v86
	v_pack_b32_f16 v21, v21, v22
	;; [unrolled: 1-line block ×8, first 2 shown]
	v_perm_b32 v35, v78, v77, 0x5040100
	v_perm_b32 v36, v88, v87, 0x5040100
	v_pack_b32_f16 v23, v23, v24
	ds_store_2addr_b32 v25, v21, v26 offset1:1
	ds_store_2addr_b32 v25, v27, v22 offset0:2 offset1:3
	ds_store_2addr_b32 v25, v29, v28 offset0:4 offset1:5
	;; [unrolled: 1-line block ×4, first 2 shown]
	ds_store_b32 v25, v23 offset:40
.LBB0_21:
	s_wait_alu 0xfffe
	s_or_b32 exec_lo, exec_lo, s2
	v_add_nc_u32_e32 v23, 0xa00, v33
	v_add_nc_u32_e32 v25, 0x400, v33
	;; [unrolled: 1-line block ×3, first 2 shown]
	global_wb scope:SCOPE_SE
	s_wait_dscnt 0x0
	s_barrier_signal -1
	s_barrier_wait -1
	global_inv scope:SCOPE_SE
	ds_load_2addr_b32 v[21:22], v33 offset1:165
	ds_load_2addr_b32 v[23:24], v23 offset0:20 offset1:185
	ds_load_2addr_b32 v[25:26], v25 offset0:74 offset1:239
	;; [unrolled: 1-line block ×3, first 2 shown]
	global_wb scope:SCOPE_SE
	s_wait_dscnt 0x0
	s_barrier_signal -1
	s_barrier_wait -1
	global_inv scope:SCOPE_SE
	v_lshrrev_b32_e32 v30, 16, v23
	v_lshrrev_b32_e32 v34, 16, v24
	;; [unrolled: 1-line block ×4, first 2 shown]
	v_mul_f16_e32 v80, v51, v23
	v_mul_f16_e32 v51, v51, v30
	;; [unrolled: 1-line block ×8, first 2 shown]
	v_lshrrev_b32_e32 v29, 16, v21
	v_fma_f16 v30, v39, v30, -v80
	v_fmac_f16_e32 v51, v39, v23
	v_lshrrev_b32_e32 v35, 16, v22
	v_fma_f16 v34, v40, v34, -v81
	v_fmac_f16_e32 v52, v40, v24
	;; [unrolled: 3-line block ×4, first 2 shown]
	v_sub_f16_e32 v23, v29, v30
	v_sub_f16_e32 v40, v21, v51
	;; [unrolled: 1-line block ×8, first 2 shown]
	v_fma_f16 v29, v29, 2.0, -v23
	v_fma_f16 v21, v21, 2.0, -v40
	;; [unrolled: 1-line block ×8, first 2 shown]
	v_pack_b32_f16 v21, v21, v29
	v_pack_b32_f16 v23, v40, v23
	;; [unrolled: 1-line block ×8, first 2 shown]
	ds_store_2addr_b32 v46, v21, v23 offset1:11
	ds_store_2addr_b32 v43, v22, v24 offset1:11
	;; [unrolled: 1-line block ×4, first 2 shown]
	v_add_nc_u32_e32 v23, 0x600, v33
	v_add_nc_u32_e32 v24, 0xd00, v33
	global_wb scope:SCOPE_SE
	s_wait_dscnt 0x0
	s_barrier_signal -1
	s_barrier_wait -1
	global_inv scope:SCOPE_SE
	ds_load_2addr_b32 v[21:22], v33 offset1:165
	ds_load_2addr_b32 v[25:26], v23 offset0:56 offset1:221
	ds_load_2addr_b32 v[23:24], v24 offset0:48 offset1:213
	s_and_saveexec_b32 s2, s0
	s_cbranch_execz .LBB0_23
; %bb.22:
	ds_load_b32 v27, v33 offset:1320
	ds_load_b32 v34, v33 offset:3080
	;; [unrolled: 1-line block ×3, first 2 shown]
	s_wait_dscnt 0x2
	v_lshrrev_b32_e32 v28, 16, v27
	s_wait_dscnt 0x1
	v_lshrrev_b32_e32 v30, 16, v34
	;; [unrolled: 2-line block ×3, first 2 shown]
.LBB0_23:
	s_wait_alu 0xfffe
	s_or_b32 exec_lo, exec_lo, s2
	s_wait_dscnt 0x1
	v_lshrrev_b32_e32 v35, 16, v25
	s_wait_dscnt 0x0
	v_lshrrev_b32_e32 v39, 16, v23
	v_lshrrev_b32_e32 v40, 16, v26
	v_mul_f16_e32 v42, v63, v25
	v_lshrrev_b32_e32 v43, 16, v24
	v_mul_f16_e32 v41, v63, v35
	v_mul_f16_e32 v44, v62, v39
	;; [unrolled: 1-line block ×3, first 2 shown]
	v_lshrrev_b32_e32 v36, 16, v21
	v_lshrrev_b32_e32 v29, 16, v22
	v_fmac_f16_e32 v41, v19, v25
	v_mul_f16_e32 v25, v61, v40
	v_fmac_f16_e32 v44, v20, v23
	v_mul_f16_e32 v23, v61, v26
	v_fma_f16 v19, v19, v35, -v42
	v_mul_f16_e32 v35, v60, v43
	v_fmac_f16_e32 v25, v17, v26
	v_mul_f16_e32 v26, v60, v24
	v_fma_f16 v17, v17, v40, -v23
	v_mul_f16_e32 v23, v55, v30
	v_fma_f16 v20, v20, v39, -v45
	v_fmac_f16_e32 v35, v18, v24
	v_mul_f16_e32 v24, v55, v34
	v_fma_f16 v18, v18, v43, -v26
	v_mul_f16_e32 v26, v54, v88
	v_fmac_f16_e32 v23, v15, v34
	v_mul_f16_e32 v34, v54, v87
	v_fma_f16 v15, v15, v30, -v24
	v_add_f16_e32 v24, v41, v44
	v_fmac_f16_e32 v26, v16, v87
	v_add_f16_e32 v30, v21, v41
	v_fma_f16 v34, v16, v88, -v34
	v_add_f16_e32 v16, v19, v20
	v_fma_f16 v21, -0.5, v24, v21
	v_sub_f16_e32 v24, v19, v20
	v_add_f16_e32 v19, v36, v19
	v_add_f16_e32 v40, v22, v25
	v_fmac_f16_e32 v36, -0.5, v16
	v_sub_f16_e32 v16, v41, v44
	v_fmamk_f16 v39, v24, 0xbaee, v21
	v_fmac_f16_e32 v21, 0x3aee, v24
	v_add_f16_e32 v19, v19, v20
	v_add_f16_e32 v20, v25, v35
	v_fmamk_f16 v24, v16, 0x3aee, v36
	v_fmac_f16_e32 v36, 0xbaee, v16
	v_add_f16_e32 v16, v17, v18
	v_add_f16_e32 v40, v40, v35
	v_fmac_f16_e32 v22, -0.5, v20
	v_sub_f16_e32 v20, v17, v18
	v_add_f16_e32 v17, v29, v17
	v_fmac_f16_e32 v29, -0.5, v16
	v_sub_f16_e32 v16, v25, v35
	v_add_f16_e32 v30, v30, v44
	v_fmamk_f16 v25, v20, 0xbaee, v22
	v_fmac_f16_e32 v22, 0x3aee, v20
	v_add_f16_e32 v20, v17, v18
	v_add_f16_e32 v17, v26, v23
	v_fmamk_f16 v35, v16, 0x3aee, v29
	v_fmac_f16_e32 v29, 0xbaee, v16
	v_add_f16_e32 v16, v34, v15
	v_add_f16_e32 v18, v27, v23
	v_fmac_f16_e32 v27, -0.5, v17
	v_sub_f16_e32 v17, v15, v34
	v_add_f16_e32 v41, v15, v28
	v_fmac_f16_e32 v28, -0.5, v16
	v_sub_f16_e32 v23, v23, v26
	v_add_f16_e32 v15, v26, v18
	v_fmamk_f16 v16, v17, 0xbaee, v27
	v_fmac_f16_e32 v27, 0x3aee, v17
	v_add_f16_e32 v17, v34, v41
	v_fmamk_f16 v18, v23, 0x3aee, v28
	v_fmac_f16_e32 v28, 0xbaee, v23
	v_pack_b32_f16 v19, v30, v19
	v_pack_b32_f16 v23, v39, v24
	;; [unrolled: 1-line block ×6, first 2 shown]
	global_wb scope:SCOPE_SE
	s_barrier_signal -1
	s_barrier_wait -1
	global_inv scope:SCOPE_SE
	ds_store_2addr_b32 v53, v19, v23 offset1:22
	ds_store_b32 v53, v21 offset:176
	ds_store_2addr_b32 v48, v20, v24 offset1:22
	ds_store_b32 v48, v25 offset:176
	s_and_saveexec_b32 s2, s0
	s_cbranch_execz .LBB0_25
; %bb.24:
	v_mad_u16 v19, 0x42, v37, v38
	v_perm_b32 v20, v17, v15, 0x5040100
	v_perm_b32 v21, v18, v16, 0x5040100
	;; [unrolled: 1-line block ×3, first 2 shown]
	s_delay_alu instid0(VALU_DEP_4) | instskip(NEXT) | instid1(VALU_DEP_1)
	v_and_b32_e32 v19, 0xffff, v19
	v_lshlrev_b32_e32 v19, 2, v19
	ds_store_2addr_b32 v19, v20, v21 offset1:22
	ds_store_b32 v19, v23 offset:176
.LBB0_25:
	s_wait_alu 0xfffe
	s_or_b32 exec_lo, exec_lo, s2
	global_wb scope:SCOPE_SE
	s_wait_dscnt 0x0
	s_barrier_signal -1
	s_barrier_wait -1
	global_inv scope:SCOPE_SE
	ds_load_b32 v19, v33
	ds_load_b32 v21, v33 offset:1056
	ds_load_b32 v24, v33 offset:2112
	;; [unrolled: 1-line block ×4, first 2 shown]
	s_and_saveexec_b32 s0, s1
	s_cbranch_execz .LBB0_27
; %bb.26:
	ds_load_b32 v22, v33 offset:660
	ds_load_b32 v15, v33 offset:1716
	ds_load_b32 v16, v33 offset:2772
	ds_load_b32 v27, v33 offset:3828
	ds_load_b32 v77, v33 offset:4884
	s_wait_dscnt 0x4
	v_lshrrev_b32_e32 v29, 16, v22
	s_wait_dscnt 0x3
	v_lshrrev_b32_e32 v17, 16, v15
	;; [unrolled: 2-line block ×5, first 2 shown]
.LBB0_27:
	s_wait_alu 0xfffe
	s_or_b32 exec_lo, exec_lo, s0
	s_wait_dscnt 0x2
	v_lshrrev_b32_e32 v25, 16, v24
	s_wait_dscnt 0x1
	v_lshrrev_b32_e32 v26, 16, v23
	v_lshrrev_b32_e32 v30, 16, v21
	s_wait_dscnt 0x0
	v_lshrrev_b32_e32 v34, 16, v20
	v_mul_f16_e32 v37, v73, v21
	v_mul_f16_e32 v35, v74, v25
	;; [unrolled: 1-line block ×5, first 2 shown]
	v_fma_f16 v30, v4, v30, -v37
	v_fmac_f16_e32 v35, v5, v24
	v_fmac_f16_e32 v36, v6, v23
	v_mul_f16_e32 v24, v71, v20
	v_mul_f16_e32 v23, v72, v23
	v_fmac_f16_e32 v39, v4, v21
	v_fma_f16 v5, v5, v25, -v38
	v_add_f16_e32 v4, v35, v36
	v_fma_f16 v21, v7, v34, -v24
	v_mul_f16_e32 v24, v71, v34
	v_add_f16_e32 v25, v19, v39
	v_fma_f16 v6, v6, v26, -v23
	v_fma_f16 v4, -0.5, v4, v19
	v_sub_f16_e32 v34, v30, v21
	v_fmac_f16_e32 v24, v7, v20
	v_add_f16_e32 v7, v25, v35
	v_sub_f16_e32 v25, v5, v6
	v_sub_f16_e32 v26, v39, v35
	v_fmamk_f16 v20, v34, 0xbb9c, v4
	v_sub_f16_e32 v37, v24, v36
	v_fmac_f16_e32 v4, 0x3b9c, v34
	v_add_f16_e32 v38, v39, v24
	v_lshrrev_b32_e32 v23, 16, v19
	v_fmac_f16_e32 v20, 0xb8b4, v25
	v_add_f16_e32 v26, v26, v37
	v_fmac_f16_e32 v4, 0x38b4, v25
	v_fmac_f16_e32 v19, -0.5, v38
	v_add_f16_e32 v7, v7, v36
	v_add_f16_e32 v37, v5, v6
	v_fmac_f16_e32 v20, 0x34f2, v26
	v_fmac_f16_e32 v4, 0x34f2, v26
	v_fmamk_f16 v26, v25, 0x3b9c, v19
	v_sub_f16_e32 v38, v35, v39
	v_sub_f16_e32 v40, v36, v24
	v_fmac_f16_e32 v19, 0xbb9c, v25
	v_add_f16_e32 v7, v7, v24
	v_add_f16_e32 v25, v23, v30
	v_sub_f16_e32 v24, v39, v24
	v_add_f16_e32 v39, v30, v21
	v_fma_f16 v37, -0.5, v37, v23
	v_fmac_f16_e32 v26, 0xb8b4, v34
	v_add_f16_e32 v38, v38, v40
	v_fmac_f16_e32 v19, 0x38b4, v34
	v_add_f16_e32 v25, v25, v5
	v_sub_f16_e32 v35, v35, v36
	v_fmac_f16_e32 v23, -0.5, v39
	v_fmamk_f16 v34, v24, 0x3b9c, v37
	v_fmac_f16_e32 v26, 0x34f2, v38
	v_fmac_f16_e32 v19, 0x34f2, v38
	v_sub_f16_e32 v36, v30, v5
	v_sub_f16_e32 v38, v21, v6
	v_add_f16_e32 v25, v25, v6
	v_fmamk_f16 v39, v35, 0xbb9c, v23
	v_sub_f16_e32 v5, v5, v30
	v_sub_f16_e32 v6, v6, v21
	v_fmac_f16_e32 v23, 0x3b9c, v35
	v_fmac_f16_e32 v37, 0xbb9c, v24
	;; [unrolled: 1-line block ×3, first 2 shown]
	v_add_f16_e32 v30, v36, v38
	v_fmac_f16_e32 v39, 0x38b4, v24
	v_add_f16_e32 v5, v5, v6
	v_fmac_f16_e32 v23, 0xb8b4, v24
	v_fmac_f16_e32 v37, 0xb8b4, v35
	v_add_f16_e32 v6, v25, v21
	v_fmac_f16_e32 v34, 0x34f2, v30
	v_fmac_f16_e32 v39, 0x34f2, v5
	;; [unrolled: 1-line block ×4, first 2 shown]
	v_pack_b32_f16 v5, v7, v6
	v_pack_b32_f16 v6, v20, v34
	;; [unrolled: 1-line block ×5, first 2 shown]
	global_wb scope:SCOPE_SE
	s_barrier_signal -1
	s_barrier_wait -1
	global_inv scope:SCOPE_SE
	ds_store_2addr_b32 v64, v5, v6 offset1:66
	ds_store_2addr_b32 v64, v7, v19 offset0:132 offset1:198
	ds_store_b32 v64, v4 offset:1056
	s_and_saveexec_b32 s0, s1
	s_cbranch_execz .LBB0_29
; %bb.28:
	v_mul_f16_e32 v4, v59, v16
	v_mul_f16_e32 v5, v56, v15
	;; [unrolled: 1-line block ×5, first 2 shown]
	v_fma_f16 v4, v1, v18, -v4
	v_fma_f16 v5, v0, v17, -v5
	v_mul_f16_e32 v18, v59, v18
	v_mul_f16_e32 v17, v56, v17
	;; [unrolled: 1-line block ×3, first 2 shown]
	v_fma_f16 v6, v3, v78, -v6
	v_fmac_f16_e32 v19, v2, v27
	v_fmac_f16_e32 v18, v1, v16
	v_fma_f16 v1, v2, v28, -v7
	v_fmac_f16_e32 v17, v0, v15
	v_fmac_f16_e32 v20, v3, v77
	v_add_f16_e32 v21, v6, v5
	v_sub_f16_e32 v3, v4, v5
	v_sub_f16_e32 v7, v1, v6
	;; [unrolled: 1-line block ×5, first 2 shown]
	v_add_f16_e32 v27, v1, v4
	v_sub_f16_e32 v28, v5, v4
	v_sub_f16_e32 v30, v6, v1
	v_add_f16_e32 v34, v19, v18
	v_add_f16_e32 v5, v5, v29
	v_fma_f16 v0, -0.5, v21, v29
	v_add_f16_e32 v21, v20, v17
	v_sub_f16_e32 v15, v17, v20
	v_add_f16_e32 v3, v7, v3
	v_sub_f16_e32 v7, v4, v1
	v_add_f16_e32 v23, v24, v23
	v_fma_f16 v24, -0.5, v27, v29
	v_add_f16_e32 v27, v30, v28
	v_fma_f16 v28, -0.5, v34, v22
	v_add_f16_e32 v4, v4, v5
	v_add_f16_e32 v5, v22, v17
	v_sub_f16_e32 v2, v18, v19
	v_fma_f16 v21, -0.5, v21, v22
	v_fmamk_f16 v29, v15, 0x3b9c, v24
	v_sub_f16_e32 v30, v17, v18
	v_sub_f16_e32 v34, v20, v19
	v_fmamk_f16 v35, v26, 0xbb9c, v28
	v_add_f16_e32 v1, v1, v4
	v_add_f16_e32 v4, v18, v5
	v_fmamk_f16 v16, v2, 0xbb9c, v0
	v_fmamk_f16 v25, v7, 0x3b9c, v21
	v_fmac_f16_e32 v0, 0x3b9c, v2
	v_fmac_f16_e32 v21, 0xbb9c, v7
	;; [unrolled: 1-line block ×5, first 2 shown]
	v_add_f16_e32 v17, v34, v30
	v_fmac_f16_e32 v35, 0xb8b4, v7
	v_add_f16_e32 v4, v19, v4
	v_fmac_f16_e32 v16, 0x38b4, v15
	v_fmac_f16_e32 v25, 0xb8b4, v26
	;; [unrolled: 1-line block ×8, first 2 shown]
	v_add_f16_e32 v1, v6, v1
	v_add_f16_e32 v4, v20, v4
	v_and_b32_e32 v2, 0xffff, v50
	v_fmac_f16_e32 v16, 0x34f2, v3
	v_fmac_f16_e32 v25, 0x34f2, v23
	;; [unrolled: 1-line block ×6, first 2 shown]
	v_lshlrev_b32_e32 v2, 2, v2
	v_pack_b32_f16 v1, v4, v1
	v_pack_b32_f16 v3, v35, v29
	;; [unrolled: 1-line block ×5, first 2 shown]
	ds_store_2addr_b32 v2, v1, v3 offset1:66
	ds_store_2addr_b32 v2, v4, v0 offset0:132 offset1:198
	ds_store_b32 v2, v5 offset:1056
.LBB0_29:
	s_wait_alu 0xfffe
	s_or_b32 exec_lo, exec_lo, s0
	v_add_nc_u32_e32 v15, 0x400, v33
	v_add_nc_u32_e32 v16, 0xa00, v33
	;; [unrolled: 1-line block ×3, first 2 shown]
	global_wb scope:SCOPE_SE
	s_wait_dscnt 0x0
	s_barrier_signal -1
	s_barrier_wait -1
	global_inv scope:SCOPE_SE
	ds_load_2addr_b32 v[0:1], v33 offset1:165
	ds_load_2addr_b32 v[2:3], v15 offset0:74 offset1:239
	ds_load_2addr_b32 v[4:5], v16 offset0:20 offset1:185
	;; [unrolled: 1-line block ×3, first 2 shown]
	s_wait_dscnt 0x3
	v_lshrrev_b32_e32 v18, 16, v0
	s_wait_dscnt 0x2
	v_lshrrev_b32_e32 v20, 16, v2
	;; [unrolled: 2-line block ×4, first 2 shown]
	v_mul_f16_e32 v26, v70, v2
	v_mul_f16_e32 v27, v69, v4
	v_lshrrev_b32_e32 v23, 16, v3
	v_lshrrev_b32_e32 v24, 16, v5
	;; [unrolled: 1-line block ×3, first 2 shown]
	v_mul_f16_e32 v28, v68, v6
	v_mul_f16_e32 v35, v70, v20
	v_fma_f16 v20, v11, v20, -v26
	v_mul_f16_e32 v26, v69, v21
	v_fma_f16 v21, v12, v21, -v27
	v_mul_f16_e32 v27, v68, v22
	v_mul_f16_e32 v29, v67, v3
	;; [unrolled: 1-line block ×4, first 2 shown]
	v_fma_f16 v22, v13, v22, -v28
	v_mul_f16_e32 v28, v67, v23
	v_fmac_f16_e32 v35, v11, v2
	v_fmac_f16_e32 v27, v13, v6
	v_mul_f16_e32 v2, v66, v24
	v_mul_f16_e32 v6, v65, v25
	v_lshrrev_b32_e32 v19, 16, v1
	v_fma_f16 v23, v8, v23, -v29
	v_fmac_f16_e32 v26, v12, v4
	v_fma_f16 v4, v9, v24, -v30
	v_fma_f16 v13, v10, v25, -v34
	v_fmac_f16_e32 v28, v8, v3
	v_fmac_f16_e32 v2, v9, v5
	;; [unrolled: 1-line block ×3, first 2 shown]
	v_sub_f16_e32 v11, v0, v26
	v_sub_f16_e32 v12, v35, v27
	;; [unrolled: 1-line block ×8, first 2 shown]
	v_fma_f16 v0, v0, 2.0, -v11
	v_fma_f16 v24, v35, 2.0, -v12
	;; [unrolled: 1-line block ×8, first 2 shown]
	v_sub_f16_e32 v8, v0, v24
	v_sub_f16_e32 v5, v3, v5
	v_add_f16_e32 v9, v11, v22
	v_sub_f16_e32 v13, v1, v13
	v_sub_f16_e32 v18, v10, v18
	;; [unrolled: 1-line block ×3, first 2 shown]
	v_add_f16_e32 v7, v2, v7
	v_sub_f16_e32 v6, v4, v6
	v_fma_f16 v0, v0, 2.0, -v8
	v_fma_f16 v3, v3, 2.0, -v5
	;; [unrolled: 1-line block ×8, first 2 shown]
	v_pack_b32_f16 v0, v0, v3
	v_pack_b32_f16 v1, v1, v10
	;; [unrolled: 1-line block ×8, first 2 shown]
	ds_store_2addr_b32 v33, v0, v1 offset1:165
	ds_store_2addr_b32 v15, v3, v2 offset0:74 offset1:239
	ds_store_2addr_b32 v16, v5, v4 offset0:20 offset1:185
	;; [unrolled: 1-line block ×3, first 2 shown]
	global_wb scope:SCOPE_SE
	s_wait_dscnt 0x0
	s_barrier_signal -1
	s_barrier_wait -1
	global_inv scope:SCOPE_SE
	s_and_b32 exec_lo, exec_lo, vcc_lo
	s_cbranch_execz .LBB0_31
; %bb.30:
	v_mad_co_u64_u32 v[9:10], null, s6, v14, 0
	v_add_nc_u32_e32 v2, 0x400, v31
	v_add_nc_u32_e32 v3, 0x800, v31
	s_clause 0x6
	global_load_b32 v0, v31, s[14:15]
	global_load_b32 v1, v31, s[14:15] offset:480
	global_load_b32 v6, v31, s[14:15] offset:960
	;; [unrolled: 1-line block ×6, first 2 shown]
	ds_load_b32 v24, v33
	v_mad_co_u64_u32 v[15:16], null, s4, v32, 0
	ds_load_2addr_b32 v[17:18], v2 offset0:104 offset1:224
	v_mov_b32_e32 v2, v10
	ds_load_2addr_b32 v[19:20], v3 offset0:88 offset1:208
	global_load_b32 v3, v31, s[14:15] offset:3360
	ds_load_2addr_b32 v[11:12], v31 offset0:120 offset1:240
	s_mov_b32 s22, 0x8d3018d3
	v_mov_b32_e32 v4, v16
	s_mov_b32 s23, 0x3f48d301
	s_mul_u64 s[20:21], s[4:5], 0x1e0
	s_delay_alu instid0(VALU_DEP_1) | instskip(NEXT) | instid1(VALU_DEP_1)
	v_mad_co_u64_u32 v[21:22], null, s5, v32, v[4:5]
	v_mov_b32_e32 v16, v21
	s_wait_dscnt 0x2
	v_lshrrev_b32_e32 v26, 16, v17
	v_lshrrev_b32_e32 v27, 16, v18
	s_wait_dscnt 0x1
	v_lshrrev_b32_e32 v28, 16, v19
	v_lshrrev_b32_e32 v37, 16, v20
	;; [unrolled: 3-line block ×3, first 2 shown]
	v_lshlrev_b64_e32 v[15:16], 2, v[15:16]
	s_wait_loadcnt 0x6
	v_lshrrev_b32_e32 v21, 16, v1
	s_wait_loadcnt 0x5
	v_lshrrev_b32_e32 v30, 16, v6
	;; [unrolled: 2-line block ×5, first 2 shown]
	v_mul_f16_e32 v35, v25, v30
	v_mul_f16_e32 v30, v12, v30
	;; [unrolled: 1-line block ×3, first 2 shown]
	s_delay_alu instid0(VALU_DEP_3)
	v_fmac_f16_e32 v35, v12, v6
	s_wait_loadcnt 0x0
	v_mad_co_u64_u32 v[13:14], null, s7, v14, v[2:3]
	v_lshrrev_b32_e32 v14, 16, v24
	v_fma_f16 v6, v6, v25, -v30
	v_cvt_f32_f16_e32 v25, v35
	v_fmac_f16_e32 v38, v17, v7
	v_mul_f16_e32 v30, v19, v34
	s_clause 0x2
	global_load_b32 v2, v31, s[14:15] offset:3840
	global_load_b32 v4, v31, s[14:15] offset:4320
	;; [unrolled: 1-line block ×3, first 2 shown]
	v_mov_b32_e32 v10, v13
	v_lshrrev_b32_e32 v13, 16, v0
	s_delay_alu instid0(VALU_DEP_2) | instskip(NEXT) | instid1(VALU_DEP_2)
	v_lshlrev_b64_e32 v[9:10], 2, v[9:10]
	v_mul_f16_e32 v29, v14, v13
	v_mul_f16_e32 v13, v24, v13
	s_delay_alu instid0(VALU_DEP_2) | instskip(SKIP_1) | instid1(VALU_DEP_3)
	v_fmac_f16_e32 v29, v24, v0
	v_mul_f16_e32 v24, v22, v21
	v_fma_f16 v0, v0, v14, -v13
	v_mul_f16_e32 v21, v11, v21
	s_delay_alu instid0(VALU_DEP_4) | instskip(NEXT) | instid1(VALU_DEP_4)
	v_cvt_f32_f16_e32 v29, v29
	v_fmac_f16_e32 v24, v11, v1
	s_delay_alu instid0(VALU_DEP_4) | instskip(NEXT) | instid1(VALU_DEP_4)
	v_cvt_f32_f16_e32 v0, v0
	v_fma_f16 v11, v1, v22, -v21
	s_delay_alu instid0(VALU_DEP_4) | instskip(NEXT) | instid1(VALU_DEP_4)
	v_cvt_f64_f32_e32 v[13:14], v29
	v_cvt_f32_f16_e32 v21, v24
	s_delay_alu instid0(VALU_DEP_4) | instskip(NEXT) | instid1(VALU_DEP_4)
	v_cvt_f64_f32_e32 v[0:1], v0
	v_cvt_f32_f16_e32 v22, v11
	v_mul_f16_e32 v29, v17, v32
	v_mul_f16_e32 v32, v27, v33
	v_cvt_f64_f32_e32 v[11:12], v21
	v_cvt_f32_f16_e32 v17, v6
	v_cvt_f64_f32_e32 v[21:22], v22
	v_fma_f16 v26, v7, v26, -v29
	v_cvt_f64_f32_e32 v[6:7], v25
	v_mul_f16_e32 v24, v18, v33
	v_mul_f16_e32 v33, v28, v34
	v_fmac_f16_e32 v32, v18, v8
	v_cvt_f32_f16_e32 v25, v38
	v_cvt_f64_f32_e32 v[17:18], v17
	v_fma_f16 v8, v8, v27, -v24
	v_fmac_f16_e32 v33, v19, v23
	v_cvt_f32_f16_e32 v19, v26
	v_fma_f16 v27, v23, v28, -v30
	v_cvt_f64_f32_e32 v[23:24], v25
	v_cvt_f32_f16_e32 v28, v32
	v_cvt_f32_f16_e32 v8, v8
	v_cvt_f64_f32_e32 v[25:26], v19
	v_cvt_f32_f16_e32 v34, v27
	v_cvt_f32_f16_e32 v19, v33
	v_cvt_f64_f32_e32 v[27:28], v28
	v_cvt_f64_f32_e32 v[29:30], v8
	v_add_co_u32 v8, vcc_lo, s12, v9
	v_add_co_ci_u32_e32 v9, vcc_lo, s13, v10, vcc_lo
	v_cvt_f64_f32_e32 v[32:33], v19
	s_delay_alu instid0(VALU_DEP_3) | instskip(SKIP_1) | instid1(VALU_DEP_3)
	v_add_co_u32 v8, vcc_lo, v8, v15
	s_wait_alu 0xfffd
	v_add_co_ci_u32_e32 v9, vcc_lo, v9, v16, vcc_lo
	v_lshrrev_b32_e32 v19, 16, v36
	v_mul_f64_e32 v[13:14], s[22:23], v[13:14]
	v_cvt_f64_f32_e32 v[34:35], v34
	v_mul_f64_e32 v[0:1], s[22:23], v[0:1]
	v_mul_f64_e32 v[10:11], s[22:23], v[11:12]
	v_mul_f16_e32 v12, v37, v19
	v_mul_f64_e32 v[15:16], s[22:23], v[21:22]
	v_mul_f16_e32 v19, v20, v19
	v_mul_f64_e32 v[6:7], s[22:23], v[6:7]
	v_add_co_u32 v21, vcc_lo, v8, s20
	v_fmac_f16_e32 v12, v20, v36
	s_wait_alu 0xfffd
	v_add_co_ci_u32_e32 v22, vcc_lo, s21, v9, vcc_lo
	v_mul_f64_e32 v[17:18], s[22:23], v[17:18]
	v_fma_f16 v36, v36, v37, -v19
	v_cvt_f32_f16_e32 v12, v12
	v_add_co_u32 v19, vcc_lo, v21, s20
	v_mul_f64_e32 v[23:24], s[22:23], v[23:24]
	s_wait_alu 0xfffd
	v_add_co_ci_u32_e32 v20, vcc_lo, s21, v22, vcc_lo
	v_mul_f64_e32 v[25:26], s[22:23], v[25:26]
	v_cvt_f64_f32_e32 v[38:39], v12
	v_cvt_f32_f16_e32 v40, v36
	v_add_co_u32 v36, vcc_lo, v19, s20
	v_mul_f64_e32 v[27:28], s[22:23], v[27:28]
	s_wait_alu 0xfffd
	v_add_co_ci_u32_e32 v37, vcc_lo, s21, v20, vcc_lo
	v_mul_f64_e32 v[29:30], s[22:23], v[29:30]
	v_mul_f64_e32 v[32:33], s[22:23], v[32:33]
	v_cvt_f64_f32_e32 v[40:41], v40
	v_and_or_b32 v12, 0x1ff, v14, v13
	v_mul_f64_e32 v[34:35], s[22:23], v[34:35]
	v_and_or_b32 v0, 0x1ff, v1, v0
	v_lshrrev_b32_e32 v13, 8, v14
	v_lshrrev_b32_e32 v43, 8, v1
	v_cmp_ne_u32_e32 vcc_lo, 0, v12
	v_and_or_b32 v10, 0x1ff, v11, v10
	v_lshrrev_b32_e32 v45, 8, v11
	v_and_or_b32 v15, 0x1ff, v16, v15
	v_lshrrev_b32_e32 v47, 8, v16
	s_wait_alu 0xfffd
	v_cndmask_b32_e64 v12, 0, 1, vcc_lo
	v_cmp_ne_u32_e32 vcc_lo, 0, v0
	v_and_or_b32 v6, 0x1ff, v7, v6
	v_lshrrev_b32_e32 v49, 8, v7
	v_bfe_u32 v50, v7, 20, 11
	v_bfe_u32 v48, v16, 20, 11
	s_wait_alu 0xfffd
	v_cndmask_b32_e64 v0, 0, 1, vcc_lo
	v_cmp_ne_u32_e32 vcc_lo, 0, v10
	v_and_or_b32 v17, 0x1ff, v18, v17
	v_lshrrev_b32_e32 v51, 8, v18
	v_bfe_u32 v52, v18, 20, 11
	v_and_or_b32 v23, 0x1ff, v24, v23
	s_wait_alu 0xfffd
	v_cndmask_b32_e64 v10, 0, 1, vcc_lo
	v_cmp_ne_u32_e32 vcc_lo, 0, v15
	v_and_or_b32 v25, 0x1ff, v26, v25
	v_lshrrev_b32_e32 v55, 8, v26
	v_bfe_u32 v56, v26, 20, 11
	v_lshrrev_b32_e32 v53, 8, v24
	s_wait_alu 0xfffd
	v_cndmask_b32_e64 v15, 0, 1, vcc_lo
	v_cmp_ne_u32_e32 vcc_lo, 0, v6
	v_and_or_b32 v27, 0x1ff, v28, v27
	v_lshrrev_b32_e32 v57, 8, v28
	v_and_or_b32 v29, 0x1ff, v30, v29
	v_lshrrev_b32_e32 v59, 8, v30
	s_wait_alu 0xfffd
	v_cndmask_b32_e64 v6, 0, 1, vcc_lo
	v_cmp_ne_u32_e32 vcc_lo, 0, v17
	v_bfe_u32 v60, v30, 20, 11
	v_bfe_u32 v58, v28, 20, 11
	;; [unrolled: 1-line block ×3, first 2 shown]
	v_sub_nc_u32_e32 v72, 0x3f1, v56
	s_wait_alu 0xfffd
	v_cndmask_b32_e64 v17, 0, 1, vcc_lo
	v_cmp_ne_u32_e32 vcc_lo, 0, v23
	v_sub_nc_u32_e32 v74, 0x3f1, v60
	v_add_nc_u32_e32 v60, 0xfffffc10, v60
	v_sub_nc_u32_e32 v73, 0x3f1, v58
	v_sub_nc_u32_e32 v71, 0x3f1, v54
	s_wait_alu 0xfffd
	v_cndmask_b32_e64 v23, 0, 1, vcc_lo
	v_cmp_ne_u32_e32 vcc_lo, 0, v25
	v_sub_nc_u32_e32 v70, 0x3f1, v52
	v_and_or_b32 v17, 0xffe, v51, v17
	v_sub_nc_u32_e32 v69, 0x3f1, v50
	v_and_or_b32 v23, 0xffe, v53, v23
	s_wait_alu 0xfffd
	v_cndmask_b32_e64 v25, 0, 1, vcc_lo
	v_cmp_ne_u32_e32 vcc_lo, 0, v27
	v_and_or_b32 v6, 0xffe, v49, v6
	v_bfe_u32 v46, v11, 20, 11
	v_and_or_b32 v32, 0x1ff, v33, v32
	v_and_or_b32 v25, 0xffe, v55, v25
	s_wait_alu 0xfffd
	v_cndmask_b32_e64 v27, 0, 1, vcc_lo
	v_cmp_ne_u32_e32 vcc_lo, 0, v29
	v_sub_nc_u32_e32 v68, 0x3f1, v48
	v_and_or_b32 v15, 0xffe, v47, v15
	v_bfe_u32 v44, v1, 20, 11
	v_and_or_b32 v27, 0xffe, v57, v27
	s_wait_alu 0xfffd
	v_cndmask_b32_e64 v29, 0, 1, vcc_lo
	v_and_or_b32 v34, 0x1ff, v35, v34
	v_sub_nc_u32_e32 v67, 0x3f1, v46
	v_cmp_ne_u32_e32 vcc_lo, 0, v32
	v_and_or_b32 v10, 0xffe, v45, v10
	v_and_or_b32 v29, 0xffe, v59, v29
	v_med3_i32 v59, v74, 0, 13
	v_med3_i32 v55, v72, 0, 13
	v_bfe_u32 v42, v14, 20, 11
	v_sub_nc_u32_e32 v66, 0x3f1, v44
	v_lshl_or_b32 v84, v60, 12, v29
	v_add_nc_u32_e32 v58, 0xfffffc10, v58
	s_wait_alu 0xfffd
	v_cndmask_b32_e64 v32, 0, 1, vcc_lo
	v_cmp_ne_u32_e32 vcc_lo, 0, v34
	v_and_or_b32 v12, 0xffe, v13, v12
	v_and_or_b32 v0, 0xffe, v43, v0
	v_lshl_or_b32 v82, v58, 12, v27
	v_add_nc_u32_e32 v56, 0xfffffc10, v56
	v_med3_i32 v51, v70, 0, 13
	v_sub_nc_u32_e32 v65, 0x3f1, v42
	s_wait_alu 0xfffd
	v_cndmask_b32_e64 v34, 0, 1, vcc_lo
	v_med3_i32 v47, v68, 0, 13
	v_lshl_or_b32 v80, v56, 12, v25
	v_add_nc_u32_e32 v54, 0xfffffc10, v54
	v_cmp_ne_u32_e32 vcc_lo, 0, v12
	v_med3_i32 v13, v65, 0, 13
	v_med3_i32 v43, v66, 0, 13
	v_or_b32_e32 v65, 0x1000, v12
	v_lshl_or_b32 v78, v54, 12, v23
	v_add_nc_u32_e32 v52, 0xfffffc10, v52
	v_med3_i32 v45, v67, 0, 13
	v_or_b32_e32 v67, 0x1000, v0
	v_med3_i32 v49, v69, 0, 13
	v_or_b32_e32 v69, 0x1000, v10
	v_lshl_or_b32 v76, v52, 12, v17
	v_add_nc_u32_e32 v50, 0xfffffc10, v50
	v_bfe_u32 v62, v33, 20, 11
	v_med3_i32 v53, v71, 0, 13
	v_or_b32_e32 v71, 0x1000, v15
	v_lshrrev_b32_e32 v61, 8, v33
	v_lshl_or_b32 v74, v50, 12, v6
	v_add_nc_u32_e32 v48, 0xfffffc10, v48
	v_sub_nc_u32_e32 v75, 0x3f1, v62
	v_med3_i32 v57, v73, 0, 13
	v_or_b32_e32 v73, 0x1000, v6
	v_and_or_b32 v32, 0xffe, v61, v32
	v_lshl_or_b32 v72, v48, 12, v15
	v_add_nc_u32_e32 v46, 0xfffffc10, v46
	v_med3_i32 v61, v75, 0, 13
	v_or_b32_e32 v75, 0x1000, v17
	v_or_b32_e32 v77, 0x1000, v23
	;; [unrolled: 1-line block ×3, first 2 shown]
	v_lshl_or_b32 v70, v46, 12, v10
	v_add_nc_u32_e32 v44, 0xfffffc10, v44
	v_lshrrev_b32_e32 v86, v13, v65
	v_or_b32_e32 v81, 0x1000, v27
	v_lshrrev_b32_e32 v87, v43, v67
	v_or_b32_e32 v83, 0x1000, v29
	v_lshl_or_b32 v68, v44, 12, v0
	v_add_nc_u32_e32 v42, 0xfffffc10, v42
	v_lshlrev_b32_e32 v13, v13, v86
	v_lshrrev_b32_e32 v88, v45, v69
	v_lshlrev_b32_e32 v43, v43, v87
	v_lshrrev_b32_e32 v89, v47, v71
	v_lshl_or_b32 v66, v42, 12, v12
	s_wait_alu 0xfffd
	v_cndmask_b32_e64 v12, 0, 1, vcc_lo
	v_cmp_ne_u32_e32 vcc_lo, 0, v0
	v_lshlrev_b32_e32 v45, v45, v88
	v_lshrrev_b32_e32 v90, v49, v73
	v_lshlrev_b32_e32 v47, v47, v89
	v_lshrrev_b32_e32 v91, v51, v75
	s_wait_alu 0xfffd
	v_cndmask_b32_e64 v0, 0, 1, vcc_lo
	v_cmp_ne_u32_e32 vcc_lo, 0, v10
	v_lshl_or_b32 v12, v12, 9, 0x7c00
	v_lshrrev_b32_e32 v92, v53, v77
	v_lshlrev_b32_e32 v51, v51, v91
	v_lshl_or_b32 v0, v0, 9, 0x7c00
	s_wait_alu 0xfffd
	v_cndmask_b32_e64 v10, 0, 1, vcc_lo
	v_cmp_ne_u32_e32 vcc_lo, 0, v15
	v_lshlrev_b32_e32 v49, v49, v90
	v_lshrrev_b32_e32 v93, v55, v79
	v_lshlrev_b32_e32 v53, v53, v92
	v_lshl_or_b32 v10, v10, 9, 0x7c00
	s_wait_alu 0xfffd
	v_cndmask_b32_e64 v15, 0, 1, vcc_lo
	v_cmp_ne_u32_e32 vcc_lo, 0, v6
	v_lshrrev_b32_e32 v94, v57, v81
	v_lshlrev_b32_e32 v55, v55, v93
	v_or_b32_e32 v85, 0x1000, v32
	v_lshrrev_b32_e32 v95, v59, v83
	s_wait_alu 0xfffd
	v_cndmask_b32_e64 v6, 0, 1, vcc_lo
	v_cmp_ne_u32_e32 vcc_lo, 0, v17
	v_lshlrev_b32_e32 v57, v57, v94
	v_lshrrev_b32_e32 v96, v61, v85
	v_lshl_or_b32 v15, v15, 9, 0x7c00
	v_lshl_or_b32 v6, v6, 9, 0x7c00
	s_wait_alu 0xfffd
	v_cndmask_b32_e64 v17, 0, 1, vcc_lo
	v_cmp_ne_u32_e32 vcc_lo, 0, v23
	v_lshlrev_b32_e32 v59, v59, v95
	v_lshlrev_b32_e32 v61, v61, v96
	v_lshrrev_b32_e32 v14, 16, v14
	v_lshl_or_b32 v17, v17, 9, 0x7c00
	s_wait_alu 0xfffd
	v_cndmask_b32_e64 v23, 0, 1, vcc_lo
	v_cmp_ne_u32_e32 vcc_lo, 0, v25
	v_lshrrev_b32_e32 v1, 16, v1
	v_lshrrev_b32_e32 v11, 16, v11
	v_lshrrev_b32_e32 v7, 16, v7
	v_lshl_or_b32 v23, v23, 9, 0x7c00
	s_wait_alu 0xfffd
	v_cndmask_b32_e64 v25, 0, 1, vcc_lo
	v_cmp_ne_u32_e32 vcc_lo, 0, v27
	v_lshrrev_b32_e32 v16, 16, v16
	v_lshrrev_b32_e32 v18, 16, v18
	;; [unrolled: 7-line block ×3, first 2 shown]
	v_bfe_u32 v64, v35, 20, 11
	v_lshl_or_b32 v27, v27, 9, 0x7c00
	s_wait_alu 0xfffd
	v_cndmask_b32_e64 v29, 0, 1, vcc_lo
	v_cmp_ne_u32_e32 vcc_lo, v13, v65
	v_lshrrev_b32_e32 v28, 16, v28
	s_wait_alu 0xfffd
	v_cndmask_b32_e64 v13, 0, 1, vcc_lo
	v_cmp_ne_u32_e32 vcc_lo, v43, v67
	s_delay_alu instid0(VALU_DEP_2) | instskip(SKIP_3) | instid1(VALU_DEP_2)
	v_or_b32_e32 v13, v86, v13
	s_wait_alu 0xfffd
	v_cndmask_b32_e64 v43, 0, 1, vcc_lo
	v_cmp_ne_u32_e32 vcc_lo, v45, v69
	v_or_b32_e32 v43, v87, v43
	s_wait_alu 0xfffd
	v_cndmask_b32_e64 v45, 0, 1, vcc_lo
	v_cmp_ne_u32_e32 vcc_lo, v47, v71
	s_delay_alu instid0(VALU_DEP_2) | instskip(SKIP_3) | instid1(VALU_DEP_2)
	v_or_b32_e32 v45, v88, v45
	s_wait_alu 0xfffd
	v_cndmask_b32_e64 v47, 0, 1, vcc_lo
	v_cmp_ne_u32_e32 vcc_lo, v49, v73
	v_or_b32_e32 v47, v89, v47
	;; [unrolled: 9-line block ×5, first 2 shown]
	s_wait_alu 0xfffd
	v_cndmask_b32_e64 v61, 0, 1, vcc_lo
	v_cmp_gt_i32_e32 vcc_lo, 1, v42
	s_wait_alu 0xfffd
	v_cndmask_b32_e32 v13, v66, v13, vcc_lo
	v_cmp_gt_i32_e32 vcc_lo, 1, v44
	s_delay_alu instid0(VALU_DEP_2)
	v_and_b32_e32 v65, 7, v13
	s_wait_alu 0xfffd
	v_cndmask_b32_e32 v43, v68, v43, vcc_lo
	v_cmp_gt_i32_e32 vcc_lo, 1, v46
	v_lshrrev_b32_e32 v13, 2, v13
	v_cmp_eq_u32_e64 s0, 3, v65
	s_wait_alu 0xfffd
	v_cndmask_b32_e32 v45, v70, v45, vcc_lo
	v_cmp_gt_i32_e32 vcc_lo, 1, v48
	s_delay_alu instid0(VALU_DEP_2)
	v_and_b32_e32 v67, 7, v45
	s_wait_alu 0xfffd
	v_cndmask_b32_e32 v47, v72, v47, vcc_lo
	v_cmp_gt_i32_e32 vcc_lo, 1, v50
	v_lshrrev_b32_e32 v45, 2, v45
	v_cmp_lt_i32_e64 s3, 5, v67
	v_cmp_eq_u32_e64 s4, 3, v67
	s_wait_alu 0xfffd
	v_cndmask_b32_e32 v49, v74, v49, vcc_lo
	v_cmp_gt_i32_e32 vcc_lo, 1, v52
	s_delay_alu instid0(VALU_DEP_2)
	v_and_b32_e32 v69, 7, v49
	s_wait_alu 0xfffd
	v_cndmask_b32_e32 v51, v76, v51, vcc_lo
	v_cmp_gt_i32_e32 vcc_lo, 1, v54
	v_lshrrev_b32_e32 v49, 2, v49
	v_cmp_lt_i32_e64 s7, 5, v69
	;; [unrolled: 11-line block ×3, first 2 shown]
	v_cmp_eq_u32_e64 s12, 3, v71
	s_wait_alu 0xfffd
	v_cndmask_b32_e32 v57, v82, v57, vcc_lo
	v_cmp_gt_i32_e32 vcc_lo, 1, v60
	s_delay_alu instid0(VALU_DEP_2)
	v_and_b32_e32 v73, 7, v57
	s_wait_alu 0xfffd
	v_cndmask_b32_e32 v59, v84, v59, vcc_lo
	v_cmp_lt_i32_e32 vcc_lo, 5, v65
	v_lshrrev_b32_e32 v57, 2, v57
	v_cmp_lt_i32_e64 s15, 5, v73
	v_cmp_eq_u32_e64 s16, 3, v73
	s_or_b32 vcc_lo, s0, vcc_lo
	s_wait_alu 0xfffe
	v_add_co_ci_u32_e32 v13, vcc_lo, 0, v13, vcc_lo
	v_and_b32_e32 v66, 7, v43
	v_lshrrev_b32_e32 v43, 2, v43
	s_delay_alu instid0(VALU_DEP_2) | instskip(SKIP_1) | instid1(VALU_DEP_1)
	v_cmp_lt_i32_e64 s1, 5, v66
	v_cmp_eq_u32_e64 s2, 3, v66
	s_or_b32 vcc_lo, s2, s1
	s_wait_alu 0xfffe
	v_add_co_ci_u32_e32 v43, vcc_lo, 0, v43, vcc_lo
	s_or_b32 vcc_lo, s4, s3
	s_wait_alu 0xfffe
	v_add_co_ci_u32_e32 v45, vcc_lo, 0, v45, vcc_lo
	v_and_b32_e32 v68, 7, v47
	v_lshrrev_b32_e32 v47, 2, v47
	s_delay_alu instid0(VALU_DEP_2) | instskip(SKIP_1) | instid1(VALU_DEP_1)
	v_cmp_lt_i32_e64 s5, 5, v68
	v_cmp_eq_u32_e64 s6, 3, v68
	s_or_b32 vcc_lo, s6, s5
	s_wait_alu 0xfffe
	v_add_co_ci_u32_e32 v47, vcc_lo, 0, v47, vcc_lo
	s_or_b32 vcc_lo, s8, s7
	;; [unrolled: 11-line block ×4, first 2 shown]
	s_wait_alu 0xfffe
	v_add_co_ci_u32_e32 v57, vcc_lo, 0, v57, vcc_lo
	v_and_b32_e32 v74, 7, v59
	v_lshrrev_b32_e32 v59, 2, v59
	s_delay_alu instid0(VALU_DEP_2) | instskip(SKIP_1) | instid1(VALU_DEP_1)
	v_cmp_lt_i32_e64 s17, 5, v74
	v_cmp_eq_u32_e64 s18, 3, v74
	s_or_b32 vcc_lo, s18, s17
	s_wait_alu 0xfffe
	v_add_co_ci_u32_e32 v59, vcc_lo, 0, v59, vcc_lo
	v_cmp_gt_i32_e32 vcc_lo, 31, v42
	s_wait_alu 0xfffd
	v_cndmask_b32_e32 v13, 0x7c00, v13, vcc_lo
	v_cmp_gt_i32_e32 vcc_lo, 31, v44
	s_wait_alu 0xfffd
	v_cndmask_b32_e32 v43, 0x7c00, v43, vcc_lo
	;; [unrolled: 3-line block ×10, first 2 shown]
	v_cmp_eq_u32_e32 vcc_lo, 0x40f, v42
	s_wait_alu 0xfffd
	v_cndmask_b32_e32 v12, v13, v12, vcc_lo
	v_cmp_eq_u32_e32 vcc_lo, 0x40f, v44
	s_delay_alu instid0(VALU_DEP_2) | instskip(SKIP_3) | instid1(VALU_DEP_3)
	v_and_or_b32 v12, 0x8000, v14, v12
	s_wait_alu 0xfffd
	v_cndmask_b32_e32 v0, v43, v0, vcc_lo
	v_cmp_eq_u32_e32 vcc_lo, 0x40f, v46
	v_and_b32_e32 v12, 0xffff, v12
	s_delay_alu instid0(VALU_DEP_3) | instskip(SKIP_3) | instid1(VALU_DEP_3)
	v_and_or_b32 v0, 0x8000, v1, v0
	s_wait_alu 0xfffd
	v_cndmask_b32_e32 v10, v45, v10, vcc_lo
	v_cmp_eq_u32_e32 vcc_lo, 0x40f, v48
	v_lshl_or_b32 v0, v0, 16, v12
	s_delay_alu instid0(VALU_DEP_3)
	v_and_or_b32 v1, 0x8000, v11, v10
	s_wait_alu 0xfffd
	v_cndmask_b32_e32 v13, v47, v15, vcc_lo
	v_cmp_eq_u32_e32 vcc_lo, 0x40f, v50
	v_and_or_b32 v12, 0xffe, v63, v34
	v_and_b32_e32 v1, 0xffff, v1
	s_delay_alu instid0(VALU_DEP_4)
	v_and_or_b32 v10, 0x8000, v16, v13
	s_wait_alu 0xfffd
	v_cndmask_b32_e32 v6, v49, v6, vcc_lo
	v_cmp_eq_u32_e32 vcc_lo, 0x40f, v52
	v_add_nc_u32_e32 v62, 0xfffffc10, v62
	v_lshl_or_b32 v1, v10, 16, v1
	s_delay_alu instid0(VALU_DEP_4) | instskip(SKIP_3) | instid1(VALU_DEP_3)
	v_and_or_b32 v6, 0x8000, v7, v6
	s_wait_alu 0xfffd
	v_cndmask_b32_e32 v15, v51, v17, vcc_lo
	v_cmp_eq_u32_e32 vcc_lo, 0x40f, v54
	v_and_b32_e32 v6, 0xffff, v6
	s_delay_alu instid0(VALU_DEP_3)
	v_and_or_b32 v7, 0x8000, v18, v15
	s_wait_alu 0xfffd
	v_cndmask_b32_e32 v17, v53, v23, vcc_lo
	v_cmp_eq_u32_e32 vcc_lo, 0x40f, v56
	v_lshrrev_b32_e32 v15, 16, v30
	v_lshl_or_b32 v6, v7, 16, v6
	s_delay_alu instid0(VALU_DEP_4)
	v_and_or_b32 v11, 0x8000, v24, v17
	s_wait_alu 0xfffd
	v_cndmask_b32_e32 v23, v55, v25, vcc_lo
	v_cmp_eq_u32_e32 vcc_lo, 0x40f, v58
	s_clause 0x2
	global_store_b32 v[8:9], v0, off
	global_store_b32 v[21:22], v1, off
	;; [unrolled: 1-line block ×3, first 2 shown]
	v_sub_nc_u32_e32 v6, 0x3f1, v64
	v_and_b32_e32 v11, 0xffff, v11
	v_and_or_b32 v13, 0x8000, v26, v23
	s_wait_alu 0xfffd
	v_cndmask_b32_e32 v10, v57, v27, vcc_lo
	v_or_b32_e32 v0, v96, v61
	v_lshl_or_b32 v1, v62, 12, v32
	v_cmp_gt_i32_e32 vcc_lo, 1, v62
	v_lshl_or_b32 v11, v13, 16, v11
	v_or_b32_e32 v9, 0x1000, v12
	v_med3_i32 v13, v6, 0, 13
	v_lshl_or_b32 v7, v29, 9, 0x7c00
	s_wait_alu 0xfffd
	v_cndmask_b32_e32 v8, v1, v0, vcc_lo
	v_cmp_eq_u32_e32 vcc_lo, 0x40f, v60
	global_store_b32 v[36:37], v11, off
	v_lshrrev_b32_e32 v16, v13, v9
	v_mul_f64_e32 v[0:1], s[22:23], v[38:39]
	s_wait_alu 0xfffd
	v_dual_cndmask_b32 v14, v59, v7 :: v_dual_and_b32 v17, 7, v8
	v_lshrrev_b32_e32 v19, 16, v3
	v_lshlrev_b32_e32 v11, v13, v16
	v_lshrrev_b32_e32 v13, 2, v8
	s_delay_alu instid0(VALU_DEP_4)
	v_cmp_lt_i32_e32 vcc_lo, 5, v17
	v_cmp_eq_u32_e64 s0, 3, v17
	v_and_or_b32 v14, 0x8000, v15, v14
	v_cmp_ne_u32_e64 s1, v11, v9
	v_add_nc_u32_e32 v15, 0xfffffc10, v64
	v_mul_f64_e32 v[8:9], s[22:23], v[40:41]
	s_or_b32 vcc_lo, s0, vcc_lo
	v_and_or_b32 v10, 0x8000, v28, v10
	s_wait_alu 0xfffe
	v_add_co_ci_u32_e32 v13, vcc_lo, 0, v13, vcc_lo
	v_cndmask_b32_e64 v11, 0, 1, s1
	v_cmp_ne_u32_e32 vcc_lo, 0, v32
	v_and_b32_e32 v20, 0xffff, v10
	v_lshrrev_b32_e32 v21, 16, v33
	s_delay_alu instid0(VALU_DEP_4)
	v_or_b32_e32 v11, v16, v11
	v_lshl_or_b32 v16, v15, 12, v12
	s_wait_alu 0xfffd
	v_cndmask_b32_e64 v17, 0, 1, vcc_lo
	v_cmp_gt_i32_e32 vcc_lo, 1, v15
	s_wait_alu 0xfffd
	v_cndmask_b32_e32 v16, v16, v11, vcc_lo
	v_cmp_gt_i32_e32 vcc_lo, 31, v62
	s_wait_alu 0xfffd
	s_delay_alu instid0(VALU_DEP_2)
	v_dual_cndmask_b32 v11, 0x7c00, v13 :: v_dual_and_b32 v10, 7, v16
	v_lshl_or_b32 v13, v17, 9, 0x7c00
	v_cmp_eq_u32_e32 vcc_lo, 0x40f, v62
	v_add_nc_u32_e32 v6, 0xc00, v31
	v_and_or_b32 v0, 0x1ff, v1, v0
	v_cmp_eq_u32_e64 s0, 3, v10
	v_bfe_u32 v22, v1, 20, 11
	s_wait_alu 0xfffd
	v_cndmask_b32_e32 v13, v11, v13, vcc_lo
	ds_load_2addr_b32 v[6:7], v6 offset0:72 offset1:192
	v_cmp_lt_i32_e32 vcc_lo, 5, v10
	v_cmp_ne_u32_e64 s1, 0, v0
	v_and_or_b32 v21, 0x8000, v21, v13
	v_lshrrev_b32_e32 v13, 2, v16
	v_sub_nc_u32_e32 v16, 0x3f1, v22
	s_wait_alu 0xf1ff
	v_cndmask_b32_e64 v0, 0, 1, s1
	s_or_b32 vcc_lo, s0, vcc_lo
	v_and_or_b32 v8, 0x1ff, v9, v8
	s_wait_alu 0xfffe
	v_add_co_ci_u32_e32 v13, vcc_lo, 0, v13, vcc_lo
	v_med3_i32 v16, v16, 0, 13
	v_cmp_gt_i32_e32 vcc_lo, 31, v15
	v_lshrrev_b32_e32 v24, 8, v9
	v_and_b32_e32 v21, 0xffff, v21
	s_wait_alu 0xfffd
	v_cndmask_b32_e32 v13, 0x7c00, v13, vcc_lo
	v_cmp_ne_u32_e32 vcc_lo, 0, v12
	s_wait_dscnt 0x0
	v_lshrrev_b32_e32 v18, 16, v6
	s_wait_alu 0xfffd
	v_cndmask_b32_e64 v12, 0, 1, vcc_lo
	s_delay_alu instid0(VALU_DEP_2) | instskip(SKIP_1) | instid1(VALU_DEP_3)
	v_mul_f16_e32 v17, v18, v19
	v_cmp_ne_u32_e32 vcc_lo, 0, v8
	v_lshl_or_b32 v12, v12, 9, 0x7c00
	s_delay_alu instid0(VALU_DEP_3)
	v_fmac_f16_e32 v17, v6, v3
	v_mul_f16_e32 v6, v6, v19
	s_wait_alu 0xfffd
	v_cndmask_b32_e64 v8, 0, 1, vcc_lo
	v_bfe_u32 v19, v9, 20, 11
	v_cvt_f32_f16_e32 v10, v17
	v_lshrrev_b32_e32 v17, 8, v1
	v_fma_f16 v3, v3, v18, -v6
	v_and_or_b32 v8, 0xffe, v24, v8
	v_sub_nc_u32_e32 v6, 0x3f1, v19
	v_cvt_f64_f32_e32 v[10:11], v10
	v_and_or_b32 v0, 0xffe, v17, v0
	v_cvt_f32_f16_e32 v3, v3
	v_add_nc_u32_e32 v19, 0xfffffc10, v19
	v_med3_i32 v6, v6, 0, 13
	s_wait_loadcnt 0x2
	v_lshrrev_b32_e32 v24, 16, v2
	v_or_b32_e32 v17, 0x1000, v0
	v_cmp_gt_i32_e64 s1, 1, v19
	s_delay_alu instid0(VALU_DEP_2) | instskip(NEXT) | instid1(VALU_DEP_1)
	v_lshrrev_b32_e32 v23, v16, v17
	v_lshlrev_b32_e32 v16, v16, v23
	s_delay_alu instid0(VALU_DEP_1)
	v_cmp_ne_u32_e32 vcc_lo, v16, v17
	v_or_b32_e32 v17, 0x1000, v8
	s_wait_alu 0xfffd
	v_cndmask_b32_e64 v16, 0, 1, vcc_lo
	v_cmp_eq_u32_e32 vcc_lo, 0x40f, v15
	s_wait_alu 0xfffd
	v_cndmask_b32_e32 v15, v13, v12, vcc_lo
	v_cvt_f64_f32_e32 v[12:13], v3
	v_or_b32_e32 v3, v23, v16
	v_add_nc_u32_e32 v18, 0xfffffc10, v22
	v_lshrrev_b32_e32 v22, v6, v17
	v_lshrrev_b32_e32 v23, 16, v35
	v_mul_f64_e32 v[10:11], s[22:23], v[10:11]
	v_lshl_or_b32 v20, v14, 16, v20
	v_lshl_or_b32 v16, v18, 12, v0
	v_cmp_gt_i32_e32 vcc_lo, 1, v18
	s_wait_alu 0xfffd
	s_delay_alu instid0(VALU_DEP_2) | instskip(NEXT) | instid1(VALU_DEP_1)
	v_dual_cndmask_b32 v3, v16, v3 :: v_dual_lshlrev_b32 v6, v6, v22
	v_cmp_ne_u32_e32 vcc_lo, v6, v17
	v_and_or_b32 v16, 0x8000, v23, v15
	s_delay_alu instid0(VALU_DEP_3)
	v_and_b32_e32 v23, 7, v3
	s_wait_alu 0xfffd
	v_cndmask_b32_e64 v6, 0, 1, vcc_lo
	v_add_co_u32 v14, vcc_lo, v36, s20
	s_wait_alu 0xfffd
	v_add_co_ci_u32_e32 v15, vcc_lo, s21, v37, vcc_lo
	v_lshl_or_b32 v21, v16, 16, v21
	v_or_b32_e32 v6, v22, v6
	v_lshl_or_b32 v16, v19, 12, v8
	v_lshrrev_b32_e32 v22, 16, v7
	v_cmp_lt_i32_e32 vcc_lo, 5, v23
	v_cmp_eq_u32_e64 s0, 3, v23
	v_lshrrev_b32_e32 v3, 2, v3
	s_wait_alu 0xf1ff
	v_cndmask_b32_e64 v6, v16, v6, s1
	v_mul_f16_e32 v16, v22, v24
	s_or_b32 vcc_lo, s0, vcc_lo
	s_wait_alu 0xfffe
	v_add_co_ci_u32_e32 v3, vcc_lo, 0, v3, vcc_lo
	v_cmp_ne_u32_e32 vcc_lo, 0, v0
	v_fmac_f16_e32 v16, v7, v2
	v_mul_f64_e32 v[12:13], s[22:23], v[12:13]
	v_and_b32_e32 v17, 7, v6
	v_and_or_b32 v10, 0x1ff, v11, v10
	s_wait_alu 0xfffd
	v_cndmask_b32_e64 v0, 0, 1, vcc_lo
	v_cmp_gt_i32_e32 vcc_lo, 31, v18
	v_cvt_f32_f16_e32 v16, v16
	v_cmp_eq_u32_e64 s0, 3, v17
	v_cmp_ne_u32_e64 s1, 0, v10
	v_lshl_or_b32 v0, v0, 9, 0x7c00
	s_wait_alu 0xfffd
	v_cndmask_b32_e32 v3, 0x7c00, v3, vcc_lo
	v_cmp_lt_i32_e32 vcc_lo, 5, v17
	v_cvt_f64_f32_e32 v[16:17], v16
	s_wait_alu 0xf1ff
	v_cndmask_b32_e64 v10, 0, 1, s1
	v_cmp_eq_u32_e64 s1, 0x40f, v18
	v_lshrrev_b32_e32 v23, 8, v11
	v_bfe_u32 v25, v11, 20, 11
	s_or_b32 vcc_lo, s0, vcc_lo
	v_lshrrev_b32_e32 v11, 16, v11
	v_cndmask_b32_e64 v3, v3, v0, s1
	v_lshrrev_b32_e32 v0, 2, v6
	v_and_or_b32 v10, 0xffe, v23, v10
	v_sub_nc_u32_e32 v6, 0x3f1, v25
	v_lshrrev_b32_e32 v23, 16, v1
	s_wait_alu 0xfffe
	v_add_co_ci_u32_e32 v0, vcc_lo, 0, v0, vcc_lo
	v_cmp_ne_u32_e32 vcc_lo, 0, v8
	v_or_b32_e32 v18, 0x1000, v10
	v_med3_i32 v6, v6, 0, 13
	v_and_or_b32 v23, 0x8000, v23, v3
	s_wait_alu 0xfffd
	v_cndmask_b32_e64 v8, 0, 1, vcc_lo
	v_cmp_gt_i32_e32 vcc_lo, 31, v19
	v_lshrrev_b32_e32 v27, v6, v18
	s_delay_alu instid0(VALU_DEP_3)
	v_lshl_or_b32 v8, v8, 9, 0x7c00
	s_wait_alu 0xfffd
	v_cndmask_b32_e32 v26, 0x7c00, v0, vcc_lo
	v_add_co_u32 v0, vcc_lo, v14, s20
	s_wait_alu 0xfffd
	v_add_co_ci_u32_e32 v1, vcc_lo, s21, v15, vcc_lo
	v_lshlrev_b32_e32 v3, v6, v27
	v_cmp_eq_u32_e32 vcc_lo, 0x40f, v19
	v_and_or_b32 v6, 0x1ff, v13, v12
	v_lshrrev_b32_e32 v12, 16, v9
	s_wait_alu 0xfffd
	v_cndmask_b32_e32 v19, v26, v8, vcc_lo
	v_cmp_ne_u32_e32 vcc_lo, v3, v18
	v_mul_f16_e32 v3, v7, v24
	v_lshrrev_b32_e32 v18, 8, v13
	v_bfe_u32 v24, v13, 20, 11
	v_lshrrev_b32_e32 v13, 16, v13
	s_wait_alu 0xfffd
	v_cndmask_b32_e64 v8, 0, 1, vcc_lo
	v_cmp_ne_u32_e32 vcc_lo, 0, v6
	v_mul_f64_e32 v[6:7], s[22:23], v[16:17]
	v_add_nc_u32_e32 v16, 0xfffffc10, v25
	v_fma_f16 v2, v2, v22, -v3
	v_add_nc_u32_e32 v3, 0x1000, v31
	s_wait_alu 0xfffd
	v_cndmask_b32_e64 v9, 0, 1, vcc_lo
	v_or_b32_e32 v22, v27, v8
	v_lshl_or_b32 v25, v16, 12, v10
	v_cmp_gt_i32_e32 vcc_lo, 1, v16
	v_and_or_b32 v12, 0x8000, v12, v19
	v_and_or_b32 v17, 0xffe, v18, v9
	v_sub_nc_u32_e32 v9, 0x3f1, v24
	v_cvt_f32_f16_e32 v18, v2
	ds_load_2addr_b32 v[2:3], v3 offset0:56 offset1:176
	s_wait_alu 0xfffd
	v_cndmask_b32_e32 v19, v25, v22, vcc_lo
	v_or_b32_e32 v26, 0x1000, v17
	v_med3_i32 v27, v9, 0, 13
	v_cvt_f64_f32_e32 v[8:9], v18
	v_and_b32_e32 v18, 0xffff, v23
	global_store_b32 v[14:15], v20, off
	global_store_b32 v[0:1], v21, off
	v_add_co_u32 v0, vcc_lo, v0, s20
	v_lshrrev_b32_e32 v22, v27, v26
	v_lshl_or_b32 v18, v12, 16, v18
	v_and_b32_e32 v12, 7, v19
	s_wait_alu 0xfffd
	v_add_co_ci_u32_e32 v1, vcc_lo, s21, v1, vcc_lo
	v_lshlrev_b32_e32 v14, v27, v22
	s_wait_loadcnt 0x1
	v_lshrrev_b32_e32 v21, 16, v4
	v_cmp_lt_i32_e32 vcc_lo, 5, v12
	v_add_nc_u32_e32 v23, 0xfffffc10, v24
	v_cmp_eq_u32_e64 s1, 0x40f, v16
	v_cmp_ne_u32_e64 s0, v14, v26
	s_wait_dscnt 0x0
	v_lshrrev_b32_e32 v20, 16, v2
	s_wait_alu 0xf1ff
	s_delay_alu instid0(VALU_DEP_2)
	v_cndmask_b32_e64 v14, 0, 1, s0
	v_cmp_eq_u32_e64 s0, 3, v12
	v_lshrrev_b32_e32 v12, 2, v19
	v_mul_f16_e32 v15, v20, v21
	v_lshl_or_b32 v19, v23, 12, v17
	v_or_b32_e32 v14, v22, v14
	s_or_b32 vcc_lo, s0, vcc_lo
	v_and_or_b32 v6, 0x1ff, v7, v6
	s_wait_alu 0xfffe
	v_add_co_ci_u32_e32 v12, vcc_lo, 0, v12, vcc_lo
	v_cmp_gt_i32_e32 vcc_lo, 1, v23
	v_fmac_f16_e32 v15, v2, v4
	v_bfe_u32 v24, v7, 20, 11
	v_lshrrev_b32_e32 v22, 8, v7
	v_mul_f16_e32 v2, v2, v21
	s_wait_alu 0xfffd
	v_cndmask_b32_e32 v19, v19, v14, vcc_lo
	v_cmp_ne_u32_e32 vcc_lo, 0, v6
	v_cvt_f32_f16_e32 v15, v15
	v_mul_f64_e32 v[8:9], s[22:23], v[8:9]
	v_fma_f16 v2, v4, v20, -v2
	s_wait_alu 0xfffd
	v_cndmask_b32_e64 v6, 0, 1, vcc_lo
	v_cmp_ne_u32_e32 vcc_lo, 0, v10
	v_cvt_f64_f32_e32 v[14:15], v15
	v_cvt_f32_f16_e32 v2, v2
	s_delay_alu instid0(VALU_DEP_4)
	v_and_or_b32 v6, 0xffe, v22, v6
	s_wait_alu 0xfffd
	v_cndmask_b32_e64 v10, 0, 1, vcc_lo
	v_sub_nc_u32_e32 v22, 0x3f1, v24
	v_add_nc_u32_e32 v24, 0xfffffc10, v24
	v_and_b32_e32 v25, 7, v19
	v_cmp_gt_i32_e32 vcc_lo, 31, v16
	v_lshrrev_b32_e32 v19, 2, v19
	v_lshl_or_b32 v10, v10, 9, 0x7c00
	v_or_b32_e32 v26, 0x1000, v6
	v_cmp_eq_u32_e64 s0, 3, v25
	s_wait_alu 0xfffd
	v_cndmask_b32_e32 v12, 0x7c00, v12, vcc_lo
	v_cmp_lt_i32_e32 vcc_lo, 5, v25
	v_med3_i32 v22, v22, 0, 13
	s_delay_alu instid0(VALU_DEP_3) | instskip(SKIP_1) | instid1(VALU_DEP_2)
	v_cndmask_b32_e64 v10, v12, v10, s1
	s_or_b32 vcc_lo, s0, vcc_lo
	v_lshrrev_b32_e32 v12, v22, v26
	s_wait_alu 0xfffe
	v_add_co_ci_u32_e32 v16, vcc_lo, 0, v19, vcc_lo
	v_cmp_ne_u32_e32 vcc_lo, 0, v17
	s_delay_alu instid0(VALU_DEP_3) | instskip(SKIP_4) | instid1(VALU_DEP_3)
	v_lshlrev_b32_e32 v19, v22, v12
	v_and_or_b32 v22, 0x8000, v11, v10
	s_wait_alu 0xfffd
	v_cndmask_b32_e64 v17, 0, 1, vcc_lo
	v_cmp_gt_i32_e32 vcc_lo, 31, v23
	v_and_b32_e32 v20, 0xffff, v22
	s_delay_alu instid0(VALU_DEP_3)
	v_lshl_or_b32 v17, v17, 9, 0x7c00
	s_wait_alu 0xfffd
	v_cndmask_b32_e32 v16, 0x7c00, v16, vcc_lo
	v_cmp_ne_u32_e32 vcc_lo, v19, v26
	v_and_or_b32 v8, 0x1ff, v9, v8
	v_mul_f64_e32 v[10:11], s[22:23], v[14:15]
	s_wait_alu 0xfffd
	v_cndmask_b32_e64 v19, 0, 1, vcc_lo
	v_cmp_eq_u32_e32 vcc_lo, 0x40f, v23
	s_delay_alu instid0(VALU_DEP_2)
	v_or_b32_e32 v12, v12, v19
	s_wait_alu 0xfffd
	v_cndmask_b32_e32 v16, v16, v17, vcc_lo
	v_lshl_or_b32 v17, v24, 12, v6
	v_cmp_gt_i32_e32 vcc_lo, 1, v24
	s_wait_loadcnt 0x0
	v_lshrrev_b32_e32 v19, 16, v5
	v_and_or_b32 v14, 0x8000, v13, v16
	v_lshrrev_b32_e32 v16, 16, v3
	s_wait_alu 0xfffd
	v_cndmask_b32_e32 v4, v17, v12, vcc_lo
	v_cmp_ne_u32_e32 vcc_lo, 0, v8
	v_lshrrev_b32_e32 v12, 8, v9
	v_bfe_u32 v17, v9, 20, 11
	v_mul_f16_e32 v22, v16, v19
	v_and_b32_e32 v15, 7, v4
	s_wait_alu 0xfffd
	v_cndmask_b32_e64 v8, 0, 1, vcc_lo
	v_lshrrev_b32_e32 v4, 2, v4
	v_lshl_or_b32 v20, v14, 16, v20
	v_fmac_f16_e32 v22, v3, v5
	v_cmp_lt_i32_e32 vcc_lo, 5, v15
	v_and_or_b32 v8, 0xffe, v12, v8
	v_cvt_f64_f32_e32 v[12:13], v2
	v_sub_nc_u32_e32 v2, 0x3f1, v17
	v_cmp_eq_u32_e64 s0, 3, v15
	v_cvt_f32_f16_e32 v14, v22
	v_or_b32_e32 v21, 0x1000, v8
	v_mul_f16_e32 v3, v3, v19
	v_med3_i32 v2, v2, 0, 13
	s_or_b32 vcc_lo, s0, vcc_lo
	v_cvt_f64_f32_e32 v[14:15], v14
	s_wait_alu 0xfffe
	v_add_co_ci_u32_e32 v4, vcc_lo, 0, v4, vcc_lo
	v_lshrrev_b32_e32 v23, v2, v21
	v_cmp_ne_u32_e32 vcc_lo, 0, v6
	v_fma_f16 v5, v5, v16, -v3
	v_lshrrev_b32_e32 v9, 16, v9
	s_delay_alu instid0(VALU_DEP_4) | instskip(SKIP_4) | instid1(VALU_DEP_3)
	v_lshlrev_b32_e32 v2, v2, v23
	s_wait_alu 0xfffd
	v_cndmask_b32_e64 v6, 0, 1, vcc_lo
	v_cmp_gt_i32_e32 vcc_lo, 31, v24
	v_cvt_f32_f16_e32 v5, v5
	v_lshl_or_b32 v6, v6, 9, 0x7c00
	s_wait_alu 0xfffd
	v_cndmask_b32_e32 v22, 0x7c00, v4, vcc_lo
	v_and_or_b32 v4, 0x1ff, v11, v10
	v_cmp_ne_u32_e32 vcc_lo, v2, v21
	v_add_nc_u32_e32 v10, 0xfffffc10, v17
	v_lshrrev_b32_e32 v17, 8, v11
	v_bfe_u32 v21, v11, 20, 11
	v_lshrrev_b32_e32 v11, 16, v11
	s_wait_alu 0xfffd
	v_cndmask_b32_e64 v2, 0, 1, vcc_lo
	v_cmp_ne_u32_e32 vcc_lo, 0, v4
	v_lshl_or_b32 v16, v10, 12, v8
	s_delay_alu instid0(VALU_DEP_3) | instskip(SKIP_4) | instid1(VALU_DEP_3)
	v_or_b32_e32 v19, v23, v2
	s_wait_alu 0xfffd
	v_cndmask_b32_e64 v4, 0, 1, vcc_lo
	v_cmp_gt_i32_e32 vcc_lo, 1, v10
	v_mul_f64_e32 v[2:3], s[22:23], v[12:13]
	v_and_or_b32 v17, 0xffe, v17, v4
	v_sub_nc_u32_e32 v4, 0x3f1, v21
	s_wait_alu 0xfffd
	v_cndmask_b32_e32 v12, v16, v19, vcc_lo
	v_cmp_eq_u32_e32 vcc_lo, 0x40f, v24
	v_add_nc_u32_e32 v21, 0xfffffc10, v21
	v_or_b32_e32 v13, 0x1000, v17
	v_med3_i32 v16, v4, 0, 13
	v_and_b32_e32 v23, 7, v12
	s_wait_alu 0xfffd
	v_cndmask_b32_e32 v19, v22, v6, vcc_lo
	v_cvt_f64_f32_e32 v[4:5], v5
	v_lshrrev_b32_e32 v22, 16, v7
	v_lshrrev_b32_e32 v24, v16, v13
	v_add_co_u32 v6, vcc_lo, v0, s20
	s_wait_alu 0xfffd
	v_add_co_ci_u32_e32 v7, vcc_lo, s21, v1, vcc_lo
	v_cmp_lt_i32_e32 vcc_lo, 5, v23
	v_cmp_eq_u32_e64 s0, 3, v23
	v_lshlrev_b32_e32 v16, v16, v24
	v_and_or_b32 v19, 0x8000, v22, v19
	v_lshrrev_b32_e32 v22, 2, v12
	s_delay_alu instid0(VALU_DEP_4) | instskip(NEXT) | instid1(VALU_DEP_3)
	s_or_b32 vcc_lo, s0, vcc_lo
	v_cmp_ne_u32_e64 s1, v16, v13
	v_mul_f64_e32 v[12:13], s[22:23], v[14:15]
	s_wait_alu 0xfffe
	v_add_co_ci_u32_e32 v14, vcc_lo, 0, v22, vcc_lo
	v_cmp_ne_u32_e32 vcc_lo, 0, v8
	s_wait_alu 0xf1ff
	v_cndmask_b32_e64 v16, 0, 1, s1
	s_wait_alu 0xfffd
	v_cndmask_b32_e64 v8, 0, 1, vcc_lo
	v_cmp_gt_i32_e32 vcc_lo, 31, v10
	s_delay_alu instid0(VALU_DEP_3)
	v_or_b32_e32 v15, v24, v16
	v_lshl_or_b32 v16, v21, 12, v17
	v_and_or_b32 v2, 0x1ff, v3, v2
	v_lshl_or_b32 v8, v8, 9, 0x7c00
	s_wait_alu 0xfffd
	v_cndmask_b32_e32 v14, 0x7c00, v14, vcc_lo
	v_cmp_gt_i32_e32 vcc_lo, 1, v21
	s_wait_alu 0xfffd
	v_cndmask_b32_e32 v15, v16, v15, vcc_lo
	v_cmp_eq_u32_e32 vcc_lo, 0x40f, v10
	v_bfe_u32 v16, v3, 20, 11
	v_mul_f64_e32 v[4:5], s[22:23], v[4:5]
	s_delay_alu instid0(VALU_DEP_4)
	v_and_b32_e32 v10, 7, v15
	s_wait_alu 0xfffd
	v_cndmask_b32_e32 v8, v14, v8, vcc_lo
	v_cmp_ne_u32_e32 vcc_lo, 0, v2
	v_lshrrev_b32_e32 v14, 8, v3
	v_lshrrev_b32_e32 v3, 16, v3
	v_cmp_eq_u32_e64 s0, 3, v10
	v_and_or_b32 v8, 0x8000, v9, v8
	v_and_b32_e32 v9, 0xffff, v19
	s_wait_alu 0xfffd
	v_cndmask_b32_e64 v2, 0, 1, vcc_lo
	v_cmp_lt_i32_e32 vcc_lo, 5, v10
	s_delay_alu instid0(VALU_DEP_3) | instskip(SKIP_1) | instid1(VALU_DEP_4)
	v_lshl_or_b32 v10, v8, 16, v9
	v_lshrrev_b32_e32 v8, 2, v15
	v_and_or_b32 v2, 0xffe, v14, v2
	v_sub_nc_u32_e32 v14, 0x3f1, v16
	s_or_b32 vcc_lo, s0, vcc_lo
	v_and_or_b32 v12, 0x1ff, v13, v12
	s_wait_alu 0xfffe
	v_add_co_ci_u32_e32 v8, vcc_lo, 0, v8, vcc_lo
	v_or_b32_e32 v9, 0x1000, v2
	v_med3_i32 v14, v14, 0, 13
	v_cmp_ne_u32_e32 vcc_lo, 0, v17
	v_lshrrev_b32_e32 v19, 8, v13
	v_bfe_u32 v22, v13, 20, 11
	s_delay_alu instid0(VALU_DEP_4) | instskip(SKIP_3) | instid1(VALU_DEP_3)
	v_lshrrev_b32_e32 v17, v14, v9
	s_wait_alu 0xfffd
	v_cndmask_b32_e64 v15, 0, 1, vcc_lo
	v_cmp_gt_i32_e32 vcc_lo, 31, v21
	v_lshlrev_b32_e32 v14, v14, v17
	s_delay_alu instid0(VALU_DEP_3)
	v_lshl_or_b32 v15, v15, 9, 0x7c00
	s_wait_alu 0xfffd
	v_cndmask_b32_e32 v8, 0x7c00, v8, vcc_lo
	v_cmp_ne_u32_e32 vcc_lo, 0, v12
	v_and_or_b32 v4, 0x1ff, v5, v4
	s_wait_alu 0xfffd
	v_cndmask_b32_e64 v12, 0, 1, vcc_lo
	v_cmp_ne_u32_e32 vcc_lo, v14, v9
	v_add_nc_u32_e32 v14, 0xfffffc10, v16
	v_sub_nc_u32_e32 v16, 0x3f1, v22
	s_delay_alu instid0(VALU_DEP_4)
	v_and_or_b32 v12, 0xffe, v19, v12
	s_wait_alu 0xfffd
	v_cndmask_b32_e64 v9, 0, 1, vcc_lo
	v_cmp_eq_u32_e32 vcc_lo, 0x40f, v21
	v_med3_i32 v16, v16, 0, 13
	v_lshrrev_b32_e32 v19, 8, v5
	v_bfe_u32 v21, v5, 20, 11
	v_or_b32_e32 v9, v17, v9
	s_wait_alu 0xfffd
	v_cndmask_b32_e32 v8, v8, v15, vcc_lo
	v_lshl_or_b32 v15, v14, 12, v2
	v_or_b32_e32 v17, 0x1000, v12
	v_cmp_gt_i32_e32 vcc_lo, 1, v14
	v_lshrrev_b32_e32 v5, 16, v5
	v_and_or_b32 v8, 0x8000, v11, v8
	v_sub_nc_u32_e32 v11, 0x3f1, v21
	s_wait_alu 0xfffd
	v_cndmask_b32_e32 v9, v15, v9, vcc_lo
	v_lshrrev_b32_e32 v15, v16, v17
	v_cmp_ne_u32_e32 vcc_lo, 0, v4
	v_med3_i32 v11, v11, 0, 13
	v_and_b32_e32 v8, 0xffff, v8
	v_and_b32_e32 v23, 7, v9
	v_lshlrev_b32_e32 v16, v16, v15
	s_wait_alu 0xfffd
	v_cndmask_b32_e64 v4, 0, 1, vcc_lo
	v_lshrrev_b32_e32 v9, 2, v9
	v_cmp_lt_i32_e32 vcc_lo, 5, v23
	v_cmp_ne_u32_e64 s0, v16, v17
	s_delay_alu instid0(VALU_DEP_4) | instskip(SKIP_2) | instid1(VALU_DEP_3)
	v_and_or_b32 v4, 0xffe, v19, v4
	v_add_nc_u32_e32 v19, 0xfffffc10, v22
	s_wait_alu 0xf1ff
	v_cndmask_b32_e64 v16, 0, 1, s0
	v_cmp_eq_u32_e64 s0, 3, v23
	v_or_b32_e32 v17, 0x1000, v4
	v_lshl_or_b32 v22, v19, 12, v12
	s_delay_alu instid0(VALU_DEP_4) | instskip(NEXT) | instid1(VALU_DEP_4)
	v_or_b32_e32 v15, v15, v16
	s_or_b32 vcc_lo, s0, vcc_lo
	s_delay_alu instid0(VALU_DEP_3) | instskip(SKIP_3) | instid1(VALU_DEP_3)
	v_lshrrev_b32_e32 v16, v11, v17
	s_wait_alu 0xfffe
	v_add_co_ci_u32_e32 v9, vcc_lo, 0, v9, vcc_lo
	v_cmp_gt_i32_e32 vcc_lo, 1, v19
	v_lshlrev_b32_e32 v11, v11, v16
	s_wait_alu 0xfffd
	v_cndmask_b32_e32 v15, v22, v15, vcc_lo
	v_cmp_ne_u32_e32 vcc_lo, 0, v2
	s_wait_alu 0xfffd
	v_cndmask_b32_e64 v2, 0, 1, vcc_lo
	v_cmp_ne_u32_e32 vcc_lo, v11, v17
	v_add_nc_u32_e32 v17, 0xfffffc10, v21
	v_and_b32_e32 v21, 7, v15
	s_delay_alu instid0(VALU_DEP_4)
	v_lshl_or_b32 v2, v2, 9, 0x7c00
	s_wait_alu 0xfffd
	v_cndmask_b32_e64 v11, 0, 1, vcc_lo
	v_cmp_gt_i32_e32 vcc_lo, 31, v14
	v_cmp_gt_i32_e64 s1, 1, v17
	v_cmp_eq_u32_e64 s0, 3, v21
	s_delay_alu instid0(VALU_DEP_4)
	v_or_b32_e32 v11, v16, v11
	v_lshl_or_b32 v16, v17, 12, v4
	s_wait_alu 0xfffd
	v_cndmask_b32_e32 v9, 0x7c00, v9, vcc_lo
	v_cmp_lt_i32_e32 vcc_lo, 5, v21
	s_wait_alu 0xf1ff
	v_cndmask_b32_e64 v11, v16, v11, s1
	v_cmp_eq_u32_e64 s1, 0x40f, v14
	s_or_b32 vcc_lo, s0, vcc_lo
	s_delay_alu instid0(VALU_DEP_2) | instskip(NEXT) | instid1(VALU_DEP_2)
	v_and_b32_e32 v14, 7, v11
	v_cndmask_b32_e64 v2, v9, v2, s1
	v_lshrrev_b32_e32 v9, 2, v15
	v_lshrrev_b32_e32 v11, 2, v11
	v_cmp_gt_i32_e64 s1, 31, v19
	v_cmp_eq_u32_e64 s0, 3, v14
	s_wait_alu 0xfffe
	v_add_co_ci_u32_e32 v9, vcc_lo, 0, v9, vcc_lo
	v_cmp_ne_u32_e32 vcc_lo, 0, v12
	s_wait_alu 0xf1ff
	s_delay_alu instid0(VALU_DEP_2) | instskip(SKIP_3) | instid1(VALU_DEP_2)
	v_cndmask_b32_e64 v9, 0x7c00, v9, s1
	s_wait_alu 0xfffd
	v_cndmask_b32_e64 v12, 0, 1, vcc_lo
	v_cmp_lt_i32_e32 vcc_lo, 5, v14
	v_lshl_or_b32 v12, v12, 9, 0x7c00
	s_or_b32 vcc_lo, s0, vcc_lo
	s_wait_alu 0xfffe
	v_add_co_ci_u32_e32 v11, vcc_lo, 0, v11, vcc_lo
	v_cmp_ne_u32_e32 vcc_lo, 0, v4
	s_wait_alu 0xfffd
	v_cndmask_b32_e64 v4, 0, 1, vcc_lo
	v_cmp_eq_u32_e32 vcc_lo, 0x40f, v19
	s_delay_alu instid0(VALU_DEP_2)
	v_lshl_or_b32 v4, v4, 9, 0x7c00
	s_wait_alu 0xfffd
	v_cndmask_b32_e32 v9, v9, v12, vcc_lo
	v_cmp_gt_i32_e32 vcc_lo, 31, v17
	v_lshrrev_b32_e32 v12, 16, v13
	v_and_or_b32 v13, 0x8000, v3, v2
	s_wait_alu 0xfffd
	v_cndmask_b32_e32 v11, 0x7c00, v11, vcc_lo
	v_cmp_eq_u32_e32 vcc_lo, 0x40f, v17
	v_and_or_b32 v9, 0x8000, v12, v9
	s_wait_alu 0xfffd
	s_delay_alu instid0(VALU_DEP_3)
	v_cndmask_b32_e32 v4, v11, v4, vcc_lo
	v_add_co_u32 v2, vcc_lo, v6, s20
	s_wait_alu 0xfffd
	v_add_co_ci_u32_e32 v3, vcc_lo, s21, v7, vcc_lo
	v_lshl_or_b32 v11, v13, 16, v8
	v_and_or_b32 v8, 0x8000, v5, v4
	v_and_b32_e32 v9, 0xffff, v9
	v_add_co_u32 v4, vcc_lo, v2, s20
	s_wait_alu 0xfffd
	v_add_co_ci_u32_e32 v5, vcc_lo, s21, v3, vcc_lo
	s_delay_alu instid0(VALU_DEP_3) | instskip(NEXT) | instid1(VALU_DEP_3)
	v_lshl_or_b32 v12, v8, 16, v9
	v_add_co_u32 v8, vcc_lo, v4, s20
	s_wait_alu 0xfffd
	s_delay_alu instid0(VALU_DEP_3)
	v_add_co_ci_u32_e32 v9, vcc_lo, s21, v5, vcc_lo
	global_store_b32 v[0:1], v18, off
	global_store_b32 v[6:7], v20, off
	;; [unrolled: 1-line block ×5, first 2 shown]
.LBB0_31:
	s_nop 0
	s_sendmsg sendmsg(MSG_DEALLOC_VGPRS)
	s_endpgm
	.section	.rodata,"a",@progbits
	.p2align	6, 0x0
	.amdhsa_kernel bluestein_single_back_len1320_dim1_half_op_CI_CI
		.amdhsa_group_segment_fixed_size 5280
		.amdhsa_private_segment_fixed_size 0
		.amdhsa_kernarg_size 104
		.amdhsa_user_sgpr_count 2
		.amdhsa_user_sgpr_dispatch_ptr 0
		.amdhsa_user_sgpr_queue_ptr 0
		.amdhsa_user_sgpr_kernarg_segment_ptr 1
		.amdhsa_user_sgpr_dispatch_id 0
		.amdhsa_user_sgpr_private_segment_size 0
		.amdhsa_wavefront_size32 1
		.amdhsa_uses_dynamic_stack 0
		.amdhsa_enable_private_segment 0
		.amdhsa_system_sgpr_workgroup_id_x 1
		.amdhsa_system_sgpr_workgroup_id_y 0
		.amdhsa_system_sgpr_workgroup_id_z 0
		.amdhsa_system_sgpr_workgroup_info 0
		.amdhsa_system_vgpr_workitem_id 0
		.amdhsa_next_free_vgpr 174
		.amdhsa_next_free_sgpr 24
		.amdhsa_reserve_vcc 1
		.amdhsa_float_round_mode_32 0
		.amdhsa_float_round_mode_16_64 0
		.amdhsa_float_denorm_mode_32 3
		.amdhsa_float_denorm_mode_16_64 3
		.amdhsa_fp16_overflow 0
		.amdhsa_workgroup_processor_mode 1
		.amdhsa_memory_ordered 1
		.amdhsa_forward_progress 0
		.amdhsa_round_robin_scheduling 0
		.amdhsa_exception_fp_ieee_invalid_op 0
		.amdhsa_exception_fp_denorm_src 0
		.amdhsa_exception_fp_ieee_div_zero 0
		.amdhsa_exception_fp_ieee_overflow 0
		.amdhsa_exception_fp_ieee_underflow 0
		.amdhsa_exception_fp_ieee_inexact 0
		.amdhsa_exception_int_div_zero 0
	.end_amdhsa_kernel
	.text
.Lfunc_end0:
	.size	bluestein_single_back_len1320_dim1_half_op_CI_CI, .Lfunc_end0-bluestein_single_back_len1320_dim1_half_op_CI_CI
                                        ; -- End function
	.section	.AMDGPU.csdata,"",@progbits
; Kernel info:
; codeLenInByte = 21600
; NumSgprs: 26
; NumVgprs: 174
; ScratchSize: 0
; MemoryBound: 0
; FloatMode: 240
; IeeeMode: 1
; LDSByteSize: 5280 bytes/workgroup (compile time only)
; SGPRBlocks: 3
; VGPRBlocks: 21
; NumSGPRsForWavesPerEU: 26
; NumVGPRsForWavesPerEU: 174
; Occupancy: 8
; WaveLimiterHint : 1
; COMPUTE_PGM_RSRC2:SCRATCH_EN: 0
; COMPUTE_PGM_RSRC2:USER_SGPR: 2
; COMPUTE_PGM_RSRC2:TRAP_HANDLER: 0
; COMPUTE_PGM_RSRC2:TGID_X_EN: 1
; COMPUTE_PGM_RSRC2:TGID_Y_EN: 0
; COMPUTE_PGM_RSRC2:TGID_Z_EN: 0
; COMPUTE_PGM_RSRC2:TIDIG_COMP_CNT: 0
	.text
	.p2alignl 7, 3214868480
	.fill 96, 4, 3214868480
	.type	__hip_cuid_6c704c4866ed6ca,@object ; @__hip_cuid_6c704c4866ed6ca
	.section	.bss,"aw",@nobits
	.globl	__hip_cuid_6c704c4866ed6ca
__hip_cuid_6c704c4866ed6ca:
	.byte	0                               ; 0x0
	.size	__hip_cuid_6c704c4866ed6ca, 1

	.ident	"AMD clang version 19.0.0git (https://github.com/RadeonOpenCompute/llvm-project roc-6.4.0 25133 c7fe45cf4b819c5991fe208aaa96edf142730f1d)"
	.section	".note.GNU-stack","",@progbits
	.addrsig
	.addrsig_sym __hip_cuid_6c704c4866ed6ca
	.amdgpu_metadata
---
amdhsa.kernels:
  - .args:
      - .actual_access:  read_only
        .address_space:  global
        .offset:         0
        .size:           8
        .value_kind:     global_buffer
      - .actual_access:  read_only
        .address_space:  global
        .offset:         8
        .size:           8
        .value_kind:     global_buffer
      - .actual_access:  read_only
        .address_space:  global
        .offset:         16
        .size:           8
        .value_kind:     global_buffer
      - .actual_access:  read_only
        .address_space:  global
        .offset:         24
        .size:           8
        .value_kind:     global_buffer
      - .actual_access:  read_only
        .address_space:  global
        .offset:         32
        .size:           8
        .value_kind:     global_buffer
      - .offset:         40
        .size:           8
        .value_kind:     by_value
      - .address_space:  global
        .offset:         48
        .size:           8
        .value_kind:     global_buffer
      - .address_space:  global
        .offset:         56
        .size:           8
        .value_kind:     global_buffer
      - .address_space:  global
        .offset:         64
        .size:           8
        .value_kind:     global_buffer
      - .address_space:  global
        .offset:         72
        .size:           8
        .value_kind:     global_buffer
      - .offset:         80
        .size:           4
        .value_kind:     by_value
      - .address_space:  global
        .offset:         88
        .size:           8
        .value_kind:     global_buffer
      - .address_space:  global
        .offset:         96
        .size:           8
        .value_kind:     global_buffer
    .group_segment_fixed_size: 5280
    .kernarg_segment_align: 8
    .kernarg_segment_size: 104
    .language:       OpenCL C
    .language_version:
      - 2
      - 0
    .max_flat_workgroup_size: 165
    .name:           bluestein_single_back_len1320_dim1_half_op_CI_CI
    .private_segment_fixed_size: 0
    .sgpr_count:     26
    .sgpr_spill_count: 0
    .symbol:         bluestein_single_back_len1320_dim1_half_op_CI_CI.kd
    .uniform_work_group_size: 1
    .uses_dynamic_stack: false
    .vgpr_count:     174
    .vgpr_spill_count: 0
    .wavefront_size: 32
    .workgroup_processor_mode: 1
amdhsa.target:   amdgcn-amd-amdhsa--gfx1201
amdhsa.version:
  - 1
  - 2
...

	.end_amdgpu_metadata
